;; amdgpu-corpus repo=ROCm/rocFFT kind=compiled arch=gfx950 opt=O3
	.text
	.amdgcn_target "amdgcn-amd-amdhsa--gfx950"
	.amdhsa_code_object_version 6
	.protected	fft_rtc_fwd_len2700_factors_3_10_10_3_3_wgs_90_tpt_90_halfLds_sp_ip_CI_unitstride_sbrr_C2R_dirReg ; -- Begin function fft_rtc_fwd_len2700_factors_3_10_10_3_3_wgs_90_tpt_90_halfLds_sp_ip_CI_unitstride_sbrr_C2R_dirReg
	.globl	fft_rtc_fwd_len2700_factors_3_10_10_3_3_wgs_90_tpt_90_halfLds_sp_ip_CI_unitstride_sbrr_C2R_dirReg
	.p2align	8
	.type	fft_rtc_fwd_len2700_factors_3_10_10_3_3_wgs_90_tpt_90_halfLds_sp_ip_CI_unitstride_sbrr_C2R_dirReg,@function
fft_rtc_fwd_len2700_factors_3_10_10_3_3_wgs_90_tpt_90_halfLds_sp_ip_CI_unitstride_sbrr_C2R_dirReg: ; @fft_rtc_fwd_len2700_factors_3_10_10_3_3_wgs_90_tpt_90_halfLds_sp_ip_CI_unitstride_sbrr_C2R_dirReg
; %bb.0:
	s_load_dwordx2 s[8:9], s[0:1], 0x50
	s_load_dwordx4 s[4:7], s[0:1], 0x0
	s_load_dwordx2 s[10:11], s[0:1], 0x18
	v_mul_u32_u24_e32 v1, 0x2d9, v0
	v_add_u32_sdwa v6, s2, v1 dst_sel:DWORD dst_unused:UNUSED_PAD src0_sel:DWORD src1_sel:WORD_1
	v_mov_b32_e32 v4, 0
	s_waitcnt lgkmcnt(0)
	v_cmp_lt_u64_e64 s[2:3], s[6:7], 2
	v_mov_b32_e32 v7, v4
	s_and_b64 vcc, exec, s[2:3]
	v_mov_b64_e32 v[2:3], 0
	s_cbranch_vccnz .LBB0_8
; %bb.1:
	s_load_dwordx2 s[2:3], s[0:1], 0x10
	s_add_u32 s12, s10, 8
	s_addc_u32 s13, s11, 0
	s_mov_b64 s[14:15], 1
	v_mov_b64_e32 v[2:3], 0
	s_waitcnt lgkmcnt(0)
	s_add_u32 s16, s2, 8
	s_addc_u32 s17, s3, 0
.LBB0_2:                                ; =>This Inner Loop Header: Depth=1
	s_load_dwordx2 s[18:19], s[16:17], 0x0
                                        ; implicit-def: $vgpr8_vgpr9
	s_waitcnt lgkmcnt(0)
	v_or_b32_e32 v5, s19, v7
	v_cmp_ne_u64_e32 vcc, 0, v[4:5]
	s_and_saveexec_b64 s[2:3], vcc
	s_xor_b64 s[20:21], exec, s[2:3]
	s_cbranch_execz .LBB0_4
; %bb.3:                                ;   in Loop: Header=BB0_2 Depth=1
	v_cvt_f32_u32_e32 v1, s18
	v_cvt_f32_u32_e32 v5, s19
	s_sub_u32 s2, 0, s18
	s_subb_u32 s3, 0, s19
	v_fmac_f32_e32 v1, 0x4f800000, v5
	v_rcp_f32_e32 v1, v1
	s_nop 0
	v_mul_f32_e32 v1, 0x5f7ffffc, v1
	v_mul_f32_e32 v5, 0x2f800000, v1
	v_trunc_f32_e32 v5, v5
	v_fmac_f32_e32 v1, 0xcf800000, v5
	v_cvt_u32_f32_e32 v5, v5
	v_cvt_u32_f32_e32 v1, v1
	v_mul_lo_u32 v8, s2, v5
	v_mul_hi_u32 v10, s2, v1
	v_mul_lo_u32 v9, s3, v1
	v_add_u32_e32 v10, v10, v8
	v_mul_lo_u32 v12, s2, v1
	v_add_u32_e32 v13, v10, v9
	v_mul_hi_u32 v8, v1, v12
	v_mul_hi_u32 v11, v1, v13
	v_mul_lo_u32 v10, v1, v13
	v_mov_b32_e32 v9, v4
	v_lshl_add_u64 v[8:9], v[8:9], 0, v[10:11]
	v_mul_hi_u32 v11, v5, v12
	v_mul_lo_u32 v12, v5, v12
	v_add_co_u32_e32 v8, vcc, v8, v12
	v_mul_hi_u32 v10, v5, v13
	s_nop 0
	v_addc_co_u32_e32 v8, vcc, v9, v11, vcc
	v_mov_b32_e32 v9, v4
	s_nop 0
	v_addc_co_u32_e32 v11, vcc, 0, v10, vcc
	v_mul_lo_u32 v10, v5, v13
	v_lshl_add_u64 v[8:9], v[8:9], 0, v[10:11]
	v_add_co_u32_e32 v1, vcc, v1, v8
	v_mul_lo_u32 v10, s2, v1
	s_nop 0
	v_addc_co_u32_e32 v5, vcc, v5, v9, vcc
	v_mul_lo_u32 v8, s2, v5
	v_mul_hi_u32 v9, s2, v1
	v_add_u32_e32 v8, v9, v8
	v_mul_lo_u32 v9, s3, v1
	v_add_u32_e32 v12, v8, v9
	v_mul_hi_u32 v14, v5, v10
	v_mul_lo_u32 v15, v5, v10
	v_mul_hi_u32 v9, v1, v12
	v_mul_lo_u32 v8, v1, v12
	v_mul_hi_u32 v10, v1, v10
	v_mov_b32_e32 v11, v4
	v_lshl_add_u64 v[8:9], v[10:11], 0, v[8:9]
	v_add_co_u32_e32 v8, vcc, v8, v15
	v_mul_hi_u32 v13, v5, v12
	s_nop 0
	v_addc_co_u32_e32 v8, vcc, v9, v14, vcc
	v_mul_lo_u32 v10, v5, v12
	s_nop 0
	v_addc_co_u32_e32 v11, vcc, 0, v13, vcc
	v_mov_b32_e32 v9, v4
	v_lshl_add_u64 v[8:9], v[8:9], 0, v[10:11]
	v_add_co_u32_e32 v1, vcc, v1, v8
	v_mul_hi_u32 v10, v6, v1
	s_nop 0
	v_addc_co_u32_e32 v5, vcc, v5, v9, vcc
	v_mad_u64_u32 v[8:9], s[2:3], v6, v5, 0
	v_mov_b32_e32 v11, v4
	v_lshl_add_u64 v[8:9], v[10:11], 0, v[8:9]
	v_mad_u64_u32 v[12:13], s[2:3], v7, v1, 0
	v_add_co_u32_e32 v1, vcc, v8, v12
	v_mad_u64_u32 v[10:11], s[2:3], v7, v5, 0
	s_nop 0
	v_addc_co_u32_e32 v8, vcc, v9, v13, vcc
	v_mov_b32_e32 v9, v4
	s_nop 0
	v_addc_co_u32_e32 v11, vcc, 0, v11, vcc
	v_lshl_add_u64 v[8:9], v[8:9], 0, v[10:11]
	v_mul_lo_u32 v1, s19, v8
	v_mul_lo_u32 v5, s18, v9
	v_mad_u64_u32 v[10:11], s[2:3], s18, v8, 0
	v_add3_u32 v1, v11, v5, v1
	v_sub_u32_e32 v5, v7, v1
	v_mov_b32_e32 v11, s19
	v_sub_co_u32_e32 v14, vcc, v6, v10
	v_lshl_add_u64 v[12:13], v[8:9], 0, 1
	s_nop 0
	v_subb_co_u32_e64 v5, s[2:3], v5, v11, vcc
	v_subrev_co_u32_e64 v10, s[2:3], s18, v14
	v_subb_co_u32_e32 v1, vcc, v7, v1, vcc
	s_nop 0
	v_subbrev_co_u32_e64 v5, s[2:3], 0, v5, s[2:3]
	v_cmp_le_u32_e64 s[2:3], s19, v5
	v_cmp_le_u32_e32 vcc, s19, v1
	s_nop 0
	v_cndmask_b32_e64 v11, 0, -1, s[2:3]
	v_cmp_le_u32_e64 s[2:3], s18, v10
	s_nop 1
	v_cndmask_b32_e64 v10, 0, -1, s[2:3]
	v_cmp_eq_u32_e64 s[2:3], s19, v5
	s_nop 1
	v_cndmask_b32_e64 v5, v11, v10, s[2:3]
	v_lshl_add_u64 v[10:11], v[8:9], 0, 2
	v_cmp_ne_u32_e64 s[2:3], 0, v5
	s_nop 1
	v_cndmask_b32_e64 v5, v13, v11, s[2:3]
	v_cndmask_b32_e64 v11, 0, -1, vcc
	v_cmp_le_u32_e32 vcc, s18, v14
	s_nop 1
	v_cndmask_b32_e64 v13, 0, -1, vcc
	v_cmp_eq_u32_e32 vcc, s19, v1
	s_nop 1
	v_cndmask_b32_e32 v1, v11, v13, vcc
	v_cmp_ne_u32_e32 vcc, 0, v1
	v_cndmask_b32_e64 v1, v12, v10, s[2:3]
	s_nop 0
	v_cndmask_b32_e32 v9, v9, v5, vcc
	v_cndmask_b32_e32 v8, v8, v1, vcc
.LBB0_4:                                ;   in Loop: Header=BB0_2 Depth=1
	s_andn2_saveexec_b64 s[2:3], s[20:21]
	s_cbranch_execz .LBB0_6
; %bb.5:                                ;   in Loop: Header=BB0_2 Depth=1
	v_cvt_f32_u32_e32 v1, s18
	s_sub_i32 s20, 0, s18
	v_rcp_iflag_f32_e32 v1, v1
	s_nop 0
	v_mul_f32_e32 v1, 0x4f7ffffe, v1
	v_cvt_u32_f32_e32 v1, v1
	v_mul_lo_u32 v5, s20, v1
	v_mul_hi_u32 v5, v1, v5
	v_add_u32_e32 v1, v1, v5
	v_mul_hi_u32 v1, v6, v1
	v_mul_lo_u32 v5, v1, s18
	v_sub_u32_e32 v5, v6, v5
	v_add_u32_e32 v8, 1, v1
	v_subrev_u32_e32 v9, s18, v5
	v_cmp_le_u32_e32 vcc, s18, v5
	s_nop 1
	v_cndmask_b32_e32 v5, v5, v9, vcc
	v_cndmask_b32_e32 v1, v1, v8, vcc
	v_add_u32_e32 v8, 1, v1
	v_cmp_le_u32_e32 vcc, s18, v5
	v_mov_b32_e32 v9, v4
	s_nop 0
	v_cndmask_b32_e32 v8, v1, v8, vcc
.LBB0_6:                                ;   in Loop: Header=BB0_2 Depth=1
	s_or_b64 exec, exec, s[2:3]
	v_mad_u64_u32 v[10:11], s[2:3], v8, s18, 0
	s_load_dwordx2 s[2:3], s[12:13], 0x0
	v_mul_lo_u32 v1, v9, s18
	v_mul_lo_u32 v5, v8, s19
	v_add3_u32 v1, v11, v5, v1
	v_sub_co_u32_e32 v5, vcc, v6, v10
	s_add_u32 s14, s14, 1
	s_nop 0
	v_subb_co_u32_e32 v1, vcc, v7, v1, vcc
	s_addc_u32 s15, s15, 0
	s_waitcnt lgkmcnt(0)
	v_mul_lo_u32 v1, s2, v1
	v_mul_lo_u32 v6, s3, v5
	v_mad_u64_u32 v[2:3], s[2:3], s2, v5, v[2:3]
	s_add_u32 s12, s12, 8
	v_add3_u32 v3, v6, v3, v1
	s_addc_u32 s13, s13, 0
	v_mov_b64_e32 v[6:7], s[6:7]
	s_add_u32 s16, s16, 8
	v_cmp_ge_u64_e32 vcc, s[14:15], v[6:7]
	s_addc_u32 s17, s17, 0
	s_cbranch_vccnz .LBB0_9
; %bb.7:                                ;   in Loop: Header=BB0_2 Depth=1
	v_mov_b64_e32 v[6:7], v[8:9]
	s_branch .LBB0_2
.LBB0_8:
	v_mov_b64_e32 v[8:9], v[6:7]
.LBB0_9:
	s_lshl_b64 s[2:3], s[6:7], 3
	s_add_u32 s2, s10, s2
	s_addc_u32 s3, s11, s3
	s_load_dwordx2 s[6:7], s[2:3], 0x0
	s_load_dwordx2 s[10:11], s[0:1], 0x20
	s_mov_b32 s2, 0x2d82d83
	s_waitcnt lgkmcnt(0)
	v_mul_lo_u32 v1, s6, v9
	v_mul_lo_u32 v4, s7, v8
	v_mad_u64_u32 v[2:3], s[0:1], s6, v8, v[2:3]
	v_add3_u32 v3, v4, v3, v1
	v_mul_hi_u32 v1, v0, s2
	v_mul_u32_u24_e32 v1, 0x5a, v1
	v_cmp_gt_u64_e64 s[0:1], s[10:11], v[8:9]
	v_sub_u32_e32 v18, v0, v1
	v_lshl_add_u64 v[16:17], v[2:3], 3, s[8:9]
	s_and_saveexec_b64 s[2:3], s[0:1]
	s_cbranch_execz .LBB0_13
; %bb.10:
	v_mov_b32_e32 v19, 0
	v_lshl_add_u64 v[0:1], v[18:19], 3, v[16:17]
	s_movk_i32 s6, 0x1000
	v_add_co_u32_e32 v10, vcc, s6, v0
	s_movk_i32 s7, 0x2000
	s_nop 0
	v_addc_co_u32_e32 v11, vcc, 0, v1, vcc
	v_add_co_u32_e32 v12, vcc, s7, v0
	s_movk_i32 s8, 0x3000
	s_nop 0
	v_addc_co_u32_e32 v13, vcc, 0, v1, vcc
	;; [unrolled: 4-line block ×3, first 2 shown]
	v_add_co_u32_e32 v20, vcc, s9, v0
	global_load_dwordx2 v[2:3], v[0:1], off offset:2160
	global_load_dwordx2 v[4:5], v[0:1], off
	global_load_dwordx2 v[6:7], v[0:1], off offset:1440
	global_load_dwordx2 v[8:9], v[0:1], off offset:720
	v_addc_co_u32_e32 v21, vcc, 0, v1, vcc
	v_add_co_u32_e32 v22, vcc, 0x5000, v0
	global_load_dwordx2 v[24:25], v[0:1], off offset:2880
	global_load_dwordx2 v[26:27], v[0:1], off offset:3600
	;; [unrolled: 1-line block ×15, first 2 shown]
                                        ; kill: killed $vgpr12 killed $vgpr13
                                        ; kill: killed $vgpr0
                                        ; kill: killed $vgpr10 killed $vgpr11
	global_load_dwordx2 v[10:11], v[14:15], off offset:1392
	s_nop 0
	global_load_dwordx2 v[12:13], v[14:15], off offset:2112
	global_load_dwordx2 v[54:55], v[14:15], off offset:2832
	;; [unrolled: 1-line block ×8, first 2 shown]
	v_addc_co_u32_e32 v23, vcc, 0, v1, vcc
	global_load_dwordx2 v[0:1], v[20:21], off offset:3776
	global_load_dwordx2 v[14:15], v[22:23], off offset:400
	v_lshl_add_u32 v20, v18, 3, 0
	v_add_u32_e32 v21, 0x400, v20
	s_movk_i32 s6, 0x59
	v_add_u32_e32 v22, 0x800, v20
	v_add_u32_e32 v23, 0x1000, v20
	;; [unrolled: 1-line block ×12, first 2 shown]
	v_cmp_eq_u32_e32 vcc, s6, v18
	s_waitcnt vmcnt(27)
	ds_write2_b64 v21, v[6:7], v[2:3] offset0:52 offset1:142
	s_waitcnt vmcnt(24)
	ds_write2_b64 v22, v[24:25], v[26:27] offset0:104 offset1:194
	ds_write2_b64 v20, v[4:5], v[8:9] offset1:90
	s_waitcnt vmcnt(22)
	ds_write2_b64 v23, v[28:29], v[30:31] offset0:28 offset1:118
	s_waitcnt vmcnt(20)
	ds_write2_b64 v68, v[32:33], v[34:35] offset0:80 offset1:170
	;; [unrolled: 2-line block ×11, first 2 shown]
	v_add_u32_e32 v2, 0x4c00, v20
	s_waitcnt vmcnt(0)
	ds_write2_b64 v2, v[0:1], v[14:15] offset0:88 offset1:178
	s_and_saveexec_b64 s[6:7], vcc
	s_cbranch_execz .LBB0_12
; %bb.11:
	v_add_co_u32_e32 v0, vcc, 0x5000, v16
	v_mov_b32_e32 v18, 0x59
	s_nop 0
	v_addc_co_u32_e32 v1, vcc, 0, v17, vcc
	global_load_dwordx2 v[0:1], v[0:1], off offset:1120
	s_waitcnt vmcnt(0)
	ds_write_b64 v19, v[0:1] offset:21600
.LBB0_12:
	s_or_b64 exec, exec, s[6:7]
.LBB0_13:
	s_or_b64 exec, exec, s[2:3]
	v_lshlrev_b32_e32 v0, 3, v18
	v_add_u32_e32 v68, 0, v0
	s_waitcnt lgkmcnt(0)
	s_barrier
	v_sub_u32_e32 v4, 0, v0
	ds_read_b32 v0, v68
	ds_read_b32 v1, v4 offset:21600
	s_add_u32 s2, s4, 0x5448
	s_addc_u32 s3, s5, 0
	v_cmp_ne_u32_e32 vcc, 0, v18
	s_waitcnt lgkmcnt(0)
	v_add_f32_e32 v2, v1, v0
	v_sub_f32_e32 v3, v0, v1
                                        ; implicit-def: $vgpr0_vgpr1
	s_and_saveexec_b64 s[6:7], vcc
	s_xor_b64 s[6:7], exec, s[6:7]
	s_cbranch_execz .LBB0_15
; %bb.14:
	v_mov_b32_e32 v19, 0
	v_lshl_add_u64 v[0:1], v[18:19], 3, s[2:3]
	global_load_dwordx2 v[6:7], v[0:1], off
	ds_read_b32 v5, v4 offset:21604
	ds_read_b32 v11, v68 offset:4
	v_mov_b32_e32 v8, v3
	v_mov_b32_e32 v10, v2
	;; [unrolled: 1-line block ×3, first 2 shown]
	v_mov_b64_e32 v[0:1], v[18:19]
	s_waitcnt lgkmcnt(0)
	v_add_f32_e32 v9, v5, v11
	v_sub_f32_e32 v11, v11, v5
	v_mov_b32_e32 v12, v9
	s_waitcnt vmcnt(0)
	v_pk_mul_f32 v[14:15], v[8:9], v[6:7] op_sel:[0,1]
	v_pk_fma_f32 v[8:9], v[8:9], v[6:7], v[10:11] op_sel:[0,1,0]
	v_mov_b32_e32 v3, v15
	v_mov_b32_e32 v15, v11
	v_pk_fma_f32 v[20:21], v[6:7], v[12:13], v[8:9] neg_lo:[1,0,0] neg_hi:[1,0,0]
	v_pk_fma_f32 v[8:9], v[6:7], v[12:13], v[8:9] op_sel_hi:[0,1,1]
	v_pk_add_f32 v[2:3], v[2:3], v[14:15] neg_lo:[0,1] neg_hi:[0,1]
	v_mov_b32_e32 v21, v9
	v_pk_fma_f32 v[2:3], v[6:7], v[12:13], v[2:3] op_sel_hi:[0,1,1]
	ds_write_b64 v4, v[2:3] offset:21600
	v_mov_b64_e32 v[2:3], v[20:21]
.LBB0_15:
	s_andn2_saveexec_b64 s[6:7], s[6:7]
	s_cbranch_execz .LBB0_17
; %bb.16:
	v_mov_b32_e32 v5, 0
	ds_read_b64 v[0:1], v5 offset:10800
	s_mov_b32 s8, 2.0
	s_mov_b32 s9, -2.0
	s_waitcnt lgkmcnt(0)
	v_pk_mul_f32 v[0:1], v[0:1], s[8:9]
	ds_write_b64 v5, v[0:1] offset:10800
	v_mov_b64_e32 v[0:1], 0
.LBB0_17:
	s_or_b64 exec, exec, s[6:7]
	v_lshl_add_u64 v[0:1], v[0:1], 3, s[2:3]
	global_load_dwordx2 v[6:7], v[0:1], off offset:720
	global_load_dwordx2 v[8:9], v[0:1], off offset:1440
	;; [unrolled: 1-line block ×3, first 2 shown]
	ds_write_b64 v68, v[2:3]
	ds_read_b64 v[2:3], v68 offset:720
	ds_read_b64 v[12:13], v4 offset:20880
	global_load_dwordx2 v[14:15], v[0:1], off offset:2880
	s_movk_i32 s3, 0x1000
	s_movk_i32 s2, 0x2000
	v_add_u32_e32 v80, 0x1800, v68
	s_waitcnt lgkmcnt(0)
	v_pk_add_f32 v[20:21], v[2:3], v[12:13] neg_lo:[0,1] neg_hi:[0,1]
	v_pk_add_f32 v[2:3], v[2:3], v[12:13]
	v_mov_b32_e32 v12, v20
	v_mov_b32_e32 v13, v3
	;; [unrolled: 1-line block ×6, first 2 shown]
	v_add_u32_e32 v79, 0x3800, v68
	v_add_u32_e32 v78, 0x2000, v68
	;; [unrolled: 1-line block ×14, first 2 shown]
	s_movk_i32 s6, 0xab
	v_add_u32_e32 v82, 0xb4, v18
	v_mov_b32_e32 v85, 9
	s_mov_b32 s10, 0x3f167918
	s_mov_b32 s8, 0x3e9e377a
	s_mov_b32 s12, 0x3f4f1bbd
	s_mov_b32 s14, 0xbf737871
	s_mov_b32 s16, 0xbf167918
	s_mov_b32 s17, s10
	s_waitcnt vmcnt(3)
	v_pk_mul_f32 v[26:27], v[12:13], v[6:7] op_sel:[0,1]
	v_pk_fma_f32 v[12:13], v[12:13], v[6:7], v[22:23] op_sel:[0,1,0]
	v_mov_b32_e32 v3, v27
	v_mov_b32_e32 v27, v21
	v_pk_fma_f32 v[22:23], v[6:7], v[24:25], v[12:13] neg_lo:[1,0,0] neg_hi:[1,0,0]
	v_pk_fma_f32 v[12:13], v[6:7], v[24:25], v[12:13] op_sel_hi:[0,1,1]
	v_pk_add_f32 v[2:3], v[2:3], v[26:27] neg_lo:[0,1] neg_hi:[0,1]
	v_mov_b32_e32 v23, v13
	v_pk_fma_f32 v[2:3], v[6:7], v[24:25], v[2:3] op_sel_hi:[0,1,1]
	ds_write_b64 v68, v[22:23] offset:720
	ds_write_b64 v4, v[2:3] offset:20880
	ds_read_b64 v[2:3], v4 offset:20160
	ds_read_b64 v[6:7], v68 offset:1440
	global_load_dwordx2 v[12:13], v[0:1], off offset:3600
	s_waitcnt lgkmcnt(0)
	v_pk_add_f32 v[20:21], v[6:7], v[2:3] neg_lo:[0,1] neg_hi:[0,1]
	v_pk_add_f32 v[2:3], v[6:7], v[2:3]
	v_mov_b32_e32 v6, v20
	v_mov_b32_e32 v7, v3
	;; [unrolled: 1-line block ×4, first 2 shown]
	s_waitcnt vmcnt(3)
	v_pk_mul_f32 v[26:27], v[6:7], v[8:9] op_sel:[0,1]
	v_mov_b32_e32 v24, v3
	v_mov_b32_e32 v25, v20
	v_pk_fma_f32 v[6:7], v[6:7], v[8:9], v[22:23] op_sel:[0,1,0]
	v_mov_b32_e32 v3, v27
	v_mov_b32_e32 v27, v21
	v_pk_fma_f32 v[22:23], v[8:9], v[24:25], v[6:7] neg_lo:[1,0,0] neg_hi:[1,0,0]
	v_pk_fma_f32 v[6:7], v[8:9], v[24:25], v[6:7] op_sel_hi:[0,1,1]
	v_pk_add_f32 v[2:3], v[2:3], v[26:27] neg_lo:[0,1] neg_hi:[0,1]
	v_mov_b32_e32 v23, v7
	v_pk_fma_f32 v[2:3], v[8:9], v[24:25], v[2:3] op_sel_hi:[0,1,1]
	v_add_co_u32_e32 v8, vcc, s3, v0
	ds_write_b64 v68, v[22:23] offset:1440
	ds_write_b64 v4, v[2:3] offset:20160
	v_addc_co_u32_e32 v9, vcc, 0, v1, vcc
	ds_read_b64 v[2:3], v4 offset:19440
	ds_read_b64 v[6:7], v68 offset:2160
	global_load_dwordx2 v[20:21], v[8:9], off offset:224
	v_add_co_u32_e32 v0, vcc, s2, v0
	s_mov_b32 s2, 0x3f5db3d7
	s_waitcnt lgkmcnt(0)
	v_pk_add_f32 v[22:23], v[6:7], v[2:3] neg_lo:[0,1] neg_hi:[0,1]
	v_pk_add_f32 v[2:3], v[6:7], v[2:3]
	v_mov_b32_e32 v6, v22
	v_mov_b32_e32 v7, v3
	;; [unrolled: 1-line block ×4, first 2 shown]
	s_waitcnt vmcnt(3)
	v_pk_mul_f32 v[28:29], v[6:7], v[10:11] op_sel:[0,1]
	v_mov_b32_e32 v26, v3
	v_mov_b32_e32 v27, v22
	v_pk_fma_f32 v[6:7], v[6:7], v[10:11], v[24:25] op_sel:[0,1,0]
	v_mov_b32_e32 v3, v29
	v_mov_b32_e32 v29, v23
	v_pk_fma_f32 v[24:25], v[10:11], v[26:27], v[6:7] neg_lo:[1,0,0] neg_hi:[1,0,0]
	v_pk_fma_f32 v[6:7], v[10:11], v[26:27], v[6:7] op_sel_hi:[0,1,1]
	v_pk_add_f32 v[2:3], v[2:3], v[28:29] neg_lo:[0,1] neg_hi:[0,1]
	v_mov_b32_e32 v25, v7
	v_pk_fma_f32 v[2:3], v[10:11], v[26:27], v[2:3] op_sel_hi:[0,1,1]
	ds_write_b64 v68, v[24:25] offset:2160
	ds_write_b64 v4, v[2:3] offset:19440
	ds_read_b64 v[2:3], v4 offset:18720
	ds_read_b64 v[6:7], v68 offset:2880
	global_load_dwordx2 v[10:11], v[8:9], off offset:944
	v_addc_co_u32_e32 v1, vcc, 0, v1, vcc
	v_cmp_gt_u32_e32 vcc, 30, v18
	s_waitcnt lgkmcnt(0)
	v_pk_add_f32 v[22:23], v[6:7], v[2:3] neg_lo:[0,1] neg_hi:[0,1]
	v_pk_add_f32 v[2:3], v[6:7], v[2:3]
	v_mov_b32_e32 v6, v22
	v_mov_b32_e32 v7, v3
	;; [unrolled: 1-line block ×4, first 2 shown]
	s_waitcnt vmcnt(3)
	v_pk_mul_f32 v[28:29], v[6:7], v[14:15] op_sel:[0,1]
	v_mov_b32_e32 v26, v3
	v_mov_b32_e32 v27, v22
	v_pk_fma_f32 v[6:7], v[6:7], v[14:15], v[24:25] op_sel:[0,1,0]
	v_mov_b32_e32 v3, v29
	v_mov_b32_e32 v29, v23
	v_pk_fma_f32 v[24:25], v[14:15], v[26:27], v[6:7] neg_lo:[1,0,0] neg_hi:[1,0,0]
	v_pk_fma_f32 v[6:7], v[14:15], v[26:27], v[6:7] op_sel_hi:[0,1,1]
	v_pk_add_f32 v[2:3], v[2:3], v[28:29] neg_lo:[0,1] neg_hi:[0,1]
	v_mov_b32_e32 v25, v7
	v_pk_fma_f32 v[2:3], v[14:15], v[26:27], v[2:3] op_sel_hi:[0,1,1]
	ds_write_b64 v68, v[24:25] offset:2880
	ds_write_b64 v4, v[2:3] offset:18720
	ds_read_b64 v[2:3], v4 offset:18000
	ds_read_b64 v[6:7], v68 offset:3600
	global_load_dwordx2 v[14:15], v[8:9], off offset:1664
	s_waitcnt lgkmcnt(0)
	v_pk_add_f32 v[22:23], v[6:7], v[2:3] neg_lo:[0,1] neg_hi:[0,1]
	v_pk_add_f32 v[2:3], v[6:7], v[2:3]
	v_mov_b32_e32 v6, v22
	v_mov_b32_e32 v7, v3
	;; [unrolled: 1-line block ×4, first 2 shown]
	s_waitcnt vmcnt(3)
	v_pk_mul_f32 v[28:29], v[6:7], v[12:13] op_sel:[0,1]
	v_mov_b32_e32 v26, v3
	v_mov_b32_e32 v27, v22
	v_pk_fma_f32 v[6:7], v[6:7], v[12:13], v[24:25] op_sel:[0,1,0]
	v_mov_b32_e32 v3, v29
	v_mov_b32_e32 v29, v23
	v_pk_fma_f32 v[24:25], v[12:13], v[26:27], v[6:7] neg_lo:[1,0,0] neg_hi:[1,0,0]
	v_pk_fma_f32 v[6:7], v[12:13], v[26:27], v[6:7] op_sel_hi:[0,1,1]
	v_pk_add_f32 v[2:3], v[2:3], v[28:29] neg_lo:[0,1] neg_hi:[0,1]
	v_mov_b32_e32 v25, v7
	v_pk_fma_f32 v[2:3], v[12:13], v[26:27], v[2:3] op_sel_hi:[0,1,1]
	ds_write_b64 v68, v[24:25] offset:3600
	ds_write_b64 v4, v[2:3] offset:18000
	ds_read_b64 v[2:3], v4 offset:17280
	ds_read_b64 v[6:7], v68 offset:4320
	global_load_dwordx2 v[12:13], v[8:9], off offset:2384
	s_waitcnt lgkmcnt(0)
	v_pk_add_f32 v[22:23], v[6:7], v[2:3] neg_lo:[0,1] neg_hi:[0,1]
	v_pk_add_f32 v[2:3], v[6:7], v[2:3]
	v_mov_b32_e32 v6, v22
	v_mov_b32_e32 v7, v3
	;; [unrolled: 1-line block ×4, first 2 shown]
	s_waitcnt vmcnt(3)
	v_pk_mul_f32 v[28:29], v[6:7], v[20:21] op_sel:[0,1]
	v_mov_b32_e32 v26, v3
	v_mov_b32_e32 v27, v22
	v_pk_fma_f32 v[6:7], v[6:7], v[20:21], v[24:25] op_sel:[0,1,0]
	v_mov_b32_e32 v3, v29
	v_mov_b32_e32 v29, v23
	v_pk_fma_f32 v[24:25], v[20:21], v[26:27], v[6:7] neg_lo:[1,0,0] neg_hi:[1,0,0]
	v_pk_fma_f32 v[6:7], v[20:21], v[26:27], v[6:7] op_sel_hi:[0,1,1]
	v_pk_add_f32 v[2:3], v[2:3], v[28:29] neg_lo:[0,1] neg_hi:[0,1]
	v_mov_b32_e32 v25, v7
	v_pk_fma_f32 v[2:3], v[20:21], v[26:27], v[2:3] op_sel_hi:[0,1,1]
	ds_write_b64 v68, v[24:25] offset:4320
	ds_write_b64 v4, v[2:3] offset:17280
	ds_read_b64 v[2:3], v4 offset:16560
	ds_read_b64 v[6:7], v68 offset:5040
	s_waitcnt lgkmcnt(0)
	v_pk_add_f32 v[20:21], v[6:7], v[2:3] neg_lo:[0,1] neg_hi:[0,1]
	v_pk_add_f32 v[2:3], v[6:7], v[2:3]
	v_mov_b32_e32 v6, v20
	v_mov_b32_e32 v7, v3
	;; [unrolled: 1-line block ×4, first 2 shown]
	s_waitcnt vmcnt(2)
	v_pk_mul_f32 v[26:27], v[6:7], v[10:11] op_sel:[0,1]
	v_pk_fma_f32 v[6:7], v[6:7], v[10:11], v[22:23] op_sel:[0,1,0]
	global_load_dwordx2 v[22:23], v[8:9], off offset:3104
	v_mov_b32_e32 v24, v3
	v_mov_b32_e32 v25, v20
	v_mov_b32_e32 v3, v27
	v_mov_b32_e32 v27, v21
	v_pk_fma_f32 v[28:29], v[10:11], v[24:25], v[6:7] neg_lo:[1,0,0] neg_hi:[1,0,0]
	v_pk_fma_f32 v[6:7], v[10:11], v[24:25], v[6:7] op_sel_hi:[0,1,1]
	v_pk_add_f32 v[2:3], v[2:3], v[26:27] neg_lo:[0,1] neg_hi:[0,1]
	v_mov_b32_e32 v29, v7
	v_pk_fma_f32 v[2:3], v[10:11], v[24:25], v[2:3] op_sel_hi:[0,1,1]
	ds_write_b64 v68, v[28:29] offset:5040
	ds_write_b64 v4, v[2:3] offset:16560
	ds_read_b64 v[2:3], v4 offset:15840
	ds_read_b64 v[6:7], v68 offset:5760
	global_load_dwordx2 v[8:9], v[8:9], off offset:3824
	s_waitcnt lgkmcnt(0)
	v_pk_add_f32 v[10:11], v[6:7], v[2:3] neg_lo:[0,1] neg_hi:[0,1]
	v_pk_add_f32 v[2:3], v[6:7], v[2:3]
	v_mov_b32_e32 v6, v10
	v_mov_b32_e32 v7, v3
	v_mov_b32_e32 v20, v2
	v_mov_b32_e32 v21, v11
	s_waitcnt vmcnt(3)
	v_pk_mul_f32 v[24:25], v[6:7], v[14:15] op_sel:[0,1]
	v_pk_fma_f32 v[6:7], v[6:7], v[14:15], v[20:21] op_sel:[0,1,0]
	v_mov_b32_e32 v20, v3
	v_mov_b32_e32 v21, v10
	v_mov_b32_e32 v3, v25
	v_mov_b32_e32 v25, v11
	v_pk_fma_f32 v[26:27], v[14:15], v[20:21], v[6:7] neg_lo:[1,0,0] neg_hi:[1,0,0]
	v_pk_fma_f32 v[6:7], v[14:15], v[20:21], v[6:7] op_sel_hi:[0,1,1]
	v_pk_add_f32 v[2:3], v[2:3], v[24:25] neg_lo:[0,1] neg_hi:[0,1]
	v_mov_b32_e32 v27, v7
	v_pk_fma_f32 v[2:3], v[14:15], v[20:21], v[2:3] op_sel_hi:[0,1,1]
	ds_write_b64 v68, v[26:27] offset:5760
	ds_write_b64 v4, v[2:3] offset:15840
	ds_read_b64 v[2:3], v4 offset:15120
	ds_read_b64 v[6:7], v68 offset:6480
	global_load_dwordx2 v[14:15], v[0:1], off offset:448
	s_waitcnt lgkmcnt(0)
	v_pk_add_f32 v[10:11], v[6:7], v[2:3] neg_lo:[0,1] neg_hi:[0,1]
	v_pk_add_f32 v[2:3], v[6:7], v[2:3]
	v_mov_b32_e32 v6, v10
	v_mov_b32_e32 v7, v3
	v_mov_b32_e32 v20, v2
	v_mov_b32_e32 v21, v11
	s_waitcnt vmcnt(3)
	v_pk_mul_f32 v[24:25], v[6:7], v[12:13] op_sel:[0,1]
	v_pk_fma_f32 v[6:7], v[6:7], v[12:13], v[20:21] op_sel:[0,1,0]
	;; [unrolled: 24-line block ×4, first 2 shown]
	v_mov_b32_e32 v20, v3
	v_mov_b32_e32 v21, v10
	v_mov_b32_e32 v3, v23
	v_mov_b32_e32 v23, v11
	v_pk_fma_f32 v[24:25], v[8:9], v[20:21], v[6:7] neg_lo:[1,0,0] neg_hi:[1,0,0]
	v_pk_fma_f32 v[6:7], v[8:9], v[20:21], v[6:7] op_sel_hi:[0,1,1]
	v_pk_add_f32 v[2:3], v[2:3], v[22:23] neg_lo:[0,1] neg_hi:[0,1]
	v_mov_b32_e32 v25, v7
	v_pk_fma_f32 v[2:3], v[8:9], v[20:21], v[2:3] op_sel_hi:[0,1,1]
	ds_write_b64 v68, v[24:25] offset:7920
	ds_write_b64 v4, v[2:3] offset:13680
	ds_read_b64 v[2:3], v4 offset:12960
	ds_read_b64 v[6:7], v68 offset:8640
	s_waitcnt lgkmcnt(0)
	v_pk_add_f32 v[8:9], v[6:7], v[2:3] neg_lo:[0,1] neg_hi:[0,1]
	v_pk_add_f32 v[2:3], v[6:7], v[2:3]
	v_mov_b32_e32 v6, v8
	v_mov_b32_e32 v7, v3
	v_mov_b32_e32 v10, v2
	v_mov_b32_e32 v11, v9
	s_waitcnt vmcnt(2)
	v_pk_mul_f32 v[20:21], v[6:7], v[14:15] op_sel:[0,1]
	v_pk_fma_f32 v[6:7], v[6:7], v[14:15], v[10:11] op_sel:[0,1,0]
	v_mov_b32_e32 v10, v3
	v_mov_b32_e32 v11, v8
	v_mov_b32_e32 v3, v21
	v_mov_b32_e32 v21, v9
	v_pk_fma_f32 v[22:23], v[14:15], v[10:11], v[6:7] neg_lo:[1,0,0] neg_hi:[1,0,0]
	v_pk_fma_f32 v[6:7], v[14:15], v[10:11], v[6:7] op_sel_hi:[0,1,1]
	v_pk_add_f32 v[2:3], v[2:3], v[20:21] neg_lo:[0,1] neg_hi:[0,1]
	v_mov_b32_e32 v23, v7
	v_pk_fma_f32 v[2:3], v[14:15], v[10:11], v[2:3] op_sel_hi:[0,1,1]
	ds_write_b64 v68, v[22:23] offset:8640
	ds_write_b64 v4, v[2:3] offset:12960
	ds_read_b64 v[2:3], v4 offset:12240
	ds_read_b64 v[6:7], v68 offset:9360
	s_waitcnt lgkmcnt(0)
	v_pk_add_f32 v[8:9], v[6:7], v[2:3] neg_lo:[0,1] neg_hi:[0,1]
	v_pk_add_f32 v[2:3], v[6:7], v[2:3]
	v_mov_b32_e32 v6, v8
	v_mov_b32_e32 v7, v3
	v_mov_b32_e32 v10, v2
	v_mov_b32_e32 v11, v9
	s_waitcnt vmcnt(1)
	v_pk_mul_f32 v[14:15], v[6:7], v[12:13] op_sel:[0,1]
	v_pk_fma_f32 v[6:7], v[6:7], v[12:13], v[10:11] op_sel:[0,1,0]
	;; [unrolled: 23-line block ×3, first 2 shown]
	v_mov_b32_e32 v10, v3
	v_mov_b32_e32 v11, v8
	;; [unrolled: 1-line block ×4, first 2 shown]
	v_pk_fma_f32 v[14:15], v[0:1], v[10:11], v[6:7] neg_lo:[1,0,0] neg_hi:[1,0,0]
	v_pk_fma_f32 v[6:7], v[0:1], v[10:11], v[6:7] op_sel_hi:[0,1,1]
	v_pk_add_f32 v[2:3], v[2:3], v[12:13] neg_lo:[0,1] neg_hi:[0,1]
	v_mov_b32_e32 v15, v7
	v_pk_fma_f32 v[0:1], v[0:1], v[10:11], v[2:3] op_sel_hi:[0,1,1]
	ds_write_b64 v68, v[14:15] offset:10080
	ds_write_b64 v4, v[0:1] offset:11520
	s_waitcnt lgkmcnt(0)
	s_barrier
	s_barrier
	ds_read2_b64 v[0:3], v68 offset1:90
	ds_read2_b64 v[4:7], v80 offset0:132 offset1:222
	ds_read2_b64 v[8:11], v79 offset0:8 offset1:98
	;; [unrolled: 1-line block ×5, first 2 shown]
	s_waitcnt lgkmcnt(4)
	v_pk_add_f32 v[12:13], v[2:3], v[6:7]
	ds_read2_b64 v[32:35], v69 offset0:108 offset1:198
	s_waitcnt lgkmcnt(4)
	v_pk_add_f32 v[14:15], v[12:13], v[10:11]
	v_pk_add_f32 v[12:13], v[6:7], v[10:11]
	v_pk_add_f32 v[6:7], v[6:7], v[10:11] neg_lo:[0,1] neg_hi:[0,1]
	v_pk_fma_f32 v[2:3], v[12:13], 0.5, v[2:3] op_sel_hi:[1,0,1] neg_lo:[1,0,0] neg_hi:[1,0,0]
	v_pk_mul_f32 v[6:7], v[6:7], s[2:3] op_sel_hi:[1,0]
	ds_read2_b64 v[10:13], v81 offset0:52 offset1:142
	v_pk_add_f32 v[64:65], v[2:3], v[6:7] op_sel:[0,1] op_sel_hi:[1,0]
	v_pk_add_f32 v[2:3], v[2:3], v[6:7] op_sel:[0,1] op_sel_hi:[1,0] neg_lo:[0,1] neg_hi:[0,1]
	v_mov_b32_e32 v6, v64
	v_lshl_add_u32 v64, v18, 4, v68
	v_mov_b32_e32 v7, v3
	v_add_u32_e32 v3, 0x870, v64
	ds_read2_b64 v[36:39], v19 offset0:112 offset1:202
	ds_read2_b64 v[40:43], v72 offset0:28 offset1:118
	;; [unrolled: 1-line block ×7, first 2 shown]
	s_waitcnt lgkmcnt(0)
	s_barrier
	ds_write2_b64 v3, v[14:15], v[6:7] offset1:1
	v_pk_add_f32 v[6:7], v[20:21], v[24:25]
	v_pk_add_f32 v[14:15], v[20:21], v[24:25] neg_lo:[0,1] neg_hi:[0,1]
	v_pk_fma_f32 v[6:7], v[6:7], 0.5, v[10:11] op_sel_hi:[1,0,1] neg_lo:[1,0,0] neg_hi:[1,0,0]
	v_pk_mul_f32 v[14:15], v[14:15], s[2:3] op_sel_hi:[1,0]
	v_pk_add_f32 v[10:11], v[10:11], v[20:21]
	v_pk_add_f32 v[66:67], v[6:7], v[14:15] op_sel:[0,1] op_sel_hi:[1,0]
	v_pk_add_f32 v[6:7], v[6:7], v[14:15] op_sel:[0,1] op_sel_hi:[1,0] neg_lo:[0,1] neg_hi:[0,1]
	v_pk_add_f32 v[10:11], v[10:11], v[24:25]
	v_mov_b32_e32 v14, v66
	v_mov_b32_e32 v15, v7
	v_add_u32_e32 v3, 0x10e0, v64
	ds_write2_b64 v3, v[10:11], v[14:15] offset1:1
	v_pk_add_f32 v[14:15], v[22:23], v[26:27]
	v_pk_add_f32 v[20:21], v[22:23], v[26:27] neg_lo:[0,1] neg_hi:[0,1]
	v_pk_add_f32 v[10:11], v[12:13], v[22:23]
	v_pk_fma_f32 v[12:13], v[14:15], 0.5, v[12:13] op_sel_hi:[1,0,1] neg_lo:[1,0,0] neg_hi:[1,0,0]
	v_pk_mul_f32 v[14:15], v[20:21], s[2:3] op_sel_hi:[1,0]
	v_pk_add_f32 v[10:11], v[10:11], v[26:27]
	v_pk_add_f32 v[20:21], v[12:13], v[14:15] op_sel:[0,1] op_sel_hi:[1,0]
	v_pk_add_f32 v[12:13], v[12:13], v[14:15] op_sel:[0,1] op_sel_hi:[1,0] neg_lo:[0,1] neg_hi:[0,1]
	v_mov_b32_e32 v14, v20
	v_mov_b32_e32 v15, v13
	v_add_u32_e32 v3, 0x1950, v64
	ds_write2_b64 v3, v[10:11], v[14:15] offset1:1
	v_pk_add_f32 v[10:11], v[0:1], v[4:5]
	v_pk_add_f32 v[14:15], v[4:5], v[8:9]
	v_pk_add_f32 v[4:5], v[4:5], v[8:9] neg_lo:[0,1] neg_hi:[0,1]
	v_pk_add_f32 v[26:27], v[34:35], v[38:39]
	v_pk_fma_f32 v[0:1], v[14:15], 0.5, v[0:1] op_sel_hi:[1,0,1] neg_lo:[1,0,0] neg_hi:[1,0,0]
	v_pk_add_f32 v[14:15], v[32:33], v[36:37]
	v_pk_add_f32 v[24:25], v[30:31], v[34:35]
	v_pk_fma_f32 v[26:27], v[26:27], 0.5, v[30:31] op_sel_hi:[1,0,1] neg_lo:[1,0,0] neg_hi:[1,0,0]
	v_pk_add_f32 v[30:31], v[44:45], v[48:49]
	v_pk_mul_f32 v[4:5], v[4:5], s[2:3] op_sel_hi:[1,0]
	v_pk_add_f32 v[8:9], v[10:11], v[8:9]
	v_pk_add_f32 v[10:11], v[28:29], v[32:33]
	v_pk_fma_f32 v[14:15], v[14:15], 0.5, v[28:29] op_sel_hi:[1,0,1] neg_lo:[1,0,0] neg_hi:[1,0,0]
	v_pk_add_f32 v[28:29], v[40:41], v[44:45]
	v_pk_fma_f32 v[30:31], v[30:31], 0.5, v[40:41] op_sel_hi:[1,0,1] neg_lo:[1,0,0] neg_hi:[1,0,0]
	v_pk_add_f32 v[40:41], v[0:1], v[4:5] op_sel:[0,1] op_sel_hi:[1,0]
	v_pk_add_f32 v[0:1], v[0:1], v[4:5] op_sel:[0,1] op_sel_hi:[1,0] neg_lo:[0,1] neg_hi:[0,1]
	v_pk_add_f32 v[22:23], v[32:33], v[36:37] neg_lo:[0,1] neg_hi:[0,1]
	v_mov_b32_e32 v4, v40
	v_mov_b32_e32 v5, v1
	ds_write2_b64 v64, v[8:9], v[4:5] offset1:1
	v_pk_mul_f32 v[4:5], v[22:23], s[2:3] op_sel_hi:[1,0]
	v_pk_add_f32 v[32:33], v[34:35], v[38:39] neg_lo:[0,1] neg_hi:[0,1]
	v_pk_add_f32 v[8:9], v[14:15], v[4:5] op_sel:[0,1] op_sel_hi:[1,0]
	v_pk_add_f32 v[4:5], v[14:15], v[4:5] op_sel:[0,1] op_sel_hi:[1,0] neg_lo:[0,1] neg_hi:[0,1]
	v_mov_b32_e32 v1, v41
	v_mov_b32_e32 v7, v67
	v_pk_add_f32 v[10:11], v[10:11], v[36:37]
	v_pk_add_f32 v[34:35], v[44:45], v[48:49] neg_lo:[0,1] neg_hi:[0,1]
	v_pk_mul_f32 v[14:15], v[32:33], s[2:3] op_sel_hi:[1,0]
	ds_write_b64 v64, v[0:1] offset:16
	v_mov_b32_e32 v3, v65
	ds_write_b64 v64, v[6:7] offset:4336
	v_mov_b32_e32 v13, v21
	v_add_u32_e32 v6, 0x21c8, v64
	v_mov_b32_e32 v0, v8
	v_mov_b32_e32 v1, v5
	;; [unrolled: 1-line block ×3, first 2 shown]
	v_pk_add_f32 v[24:25], v[24:25], v[38:39]
	v_pk_add_f32 v[38:39], v[46:47], v[50:51]
	v_pk_add_f32 v[44:45], v[46:47], v[50:51] neg_lo:[0,1] neg_hi:[0,1]
	v_pk_add_f32 v[22:23], v[26:27], v[14:15] op_sel:[0,1] op_sel_hi:[1,0]
	v_pk_add_f32 v[14:15], v[26:27], v[14:15] op_sel:[0,1] op_sel_hi:[1,0] neg_lo:[0,1] neg_hi:[0,1]
	v_pk_mul_f32 v[26:27], v[34:35], s[2:3] op_sel_hi:[1,0]
	ds_write_b64 v64, v[2:3] offset:2176
	ds_write_b64 v64, v[12:13] offset:6496
	ds_write_b64 v64, v[10:11] offset:8640
	v_pk_add_f32 v[2:3], v[56:57], v[60:61]
	ds_write2_b64 v6, v[0:1], v[4:5] offset1:1
	v_pk_add_f32 v[0:1], v[56:57], v[60:61] neg_lo:[0,1] neg_hi:[0,1]
	v_pk_fma_f32 v[38:39], v[38:39], 0.5, v[42:43] op_sel_hi:[1,0,1] neg_lo:[1,0,0] neg_hi:[1,0,0]
	v_pk_add_f32 v[32:33], v[30:31], v[26:27] op_sel:[0,1] op_sel_hi:[1,0]
	v_pk_add_f32 v[26:27], v[30:31], v[26:27] op_sel:[0,1] op_sel_hi:[1,0] neg_lo:[0,1] neg_hi:[0,1]
	v_pk_mul_f32 v[30:31], v[44:45], s[2:3] op_sel_hi:[1,0]
	v_add_u32_e32 v20, 0x2a38, v64
	v_pk_fma_f32 v[2:3], v[2:3], 0.5, v[52:53] op_sel_hi:[1,0,1] neg_lo:[1,0,0] neg_hi:[1,0,0]
	v_pk_mul_f32 v[0:1], v[0:1], s[2:3] op_sel_hi:[1,0]
	v_mov_b32_e32 v6, v22
	v_mov_b32_e32 v7, v15
	;; [unrolled: 1-line block ×3, first 2 shown]
	v_pk_add_f32 v[36:37], v[42:43], v[46:47]
	v_pk_add_f32 v[28:29], v[28:29], v[48:49]
	v_pk_add_f32 v[34:35], v[38:39], v[30:31] op_sel:[0,1] op_sel_hi:[1,0]
	v_pk_add_f32 v[30:31], v[38:39], v[30:31] op_sel:[0,1] op_sel_hi:[1,0] neg_lo:[0,1] neg_hi:[0,1]
	v_add_u32_e32 v12, 0x32a8, v64
	v_pk_add_f32 v[4:5], v[2:3], v[0:1] op_sel:[0,1] op_sel_hi:[1,0]
	v_pk_add_f32 v[0:1], v[2:3], v[0:1] op_sel:[0,1] op_sel_hi:[1,0] neg_lo:[0,1] neg_hi:[0,1]
	v_pk_add_f32 v[2:3], v[52:53], v[56:57]
	ds_write_b64 v64, v[24:25] offset:10800
	ds_write2_b64 v20, v[6:7], v[14:15] offset1:1
	ds_write_b64 v64, v[28:29] offset:12960
	v_mov_b32_e32 v6, v32
	v_mov_b32_e32 v7, v27
	;; [unrolled: 1-line block ×3, first 2 shown]
	v_pk_add_f32 v[36:37], v[36:37], v[50:51]
	v_add_u32_e32 v13, 0x3b18, v64
	v_pk_add_f32 v[2:3], v[2:3], v[60:61]
	ds_write2_b64 v12, v[6:7], v[26:27] offset1:1
	ds_write_b64 v64, v[36:37] offset:15120
	v_mov_b32_e32 v6, v34
	v_mov_b32_e32 v7, v31
	;; [unrolled: 1-line block ×3, first 2 shown]
	v_add_u32_e32 v10, 0x4388, v64
	v_pk_add_f32 v[8:9], v[54:55], v[58:59]
	ds_write2_b64 v13, v[6:7], v[30:31] offset1:1
	ds_write_b64 v64, v[2:3] offset:17280
	v_mov_b32_e32 v2, v4
	v_mov_b32_e32 v3, v1
	;; [unrolled: 1-line block ×3, first 2 shown]
	v_pk_add_f32 v[8:9], v[8:9], v[62:63]
	ds_write2_b64 v10, v[2:3], v[0:1] offset1:1
	ds_write_b64 v64, v[8:9] offset:19440
	v_pk_add_f32 v[0:1], v[58:59], v[62:63]
	v_pk_add_f32 v[2:3], v[58:59], v[62:63] neg_lo:[0,1] neg_hi:[0,1]
	v_pk_fma_f32 v[0:1], v[0:1], 0.5, v[54:55] op_sel_hi:[1,0,1] neg_lo:[1,0,0] neg_hi:[1,0,0]
	v_pk_mul_f32 v[2:3], v[2:3], s[2:3] op_sel_hi:[1,0]
	v_add_u32_e32 v6, 0x4bf8, v64
	v_pk_add_f32 v[4:5], v[0:1], v[2:3] op_sel:[0,1] op_sel_hi:[1,0]
	v_pk_add_f32 v[0:1], v[0:1], v[2:3] op_sel:[0,1] op_sel_hi:[1,0] neg_lo:[0,1] neg_hi:[0,1]
	v_mov_b32_e32 v2, v4
	v_mov_b32_e32 v3, v1
	;; [unrolled: 1-line block ×3, first 2 shown]
	ds_write2_b64 v6, v[2:3], v[0:1] offset1:1
	v_mul_lo_u16_sdwa v1, v83, s6 dst_sel:DWORD dst_unused:UNUSED_PAD src0_sel:BYTE_0 src1_sel:DWORD
	v_lshrrev_b16_e32 v88, 9, v1
	v_mul_lo_u16_sdwa v0, v18, s6 dst_sel:DWORD dst_unused:UNUSED_PAD src0_sel:BYTE_0 src1_sel:DWORD
	v_mul_lo_u16_e32 v1, 3, v88
	s_mov_b32 s6, 0xaaab
	v_sub_u16_e32 v89, v83, v1
	v_mul_u32_u24_sdwa v1, v82, s6 dst_sel:DWORD dst_unused:UNUSED_PAD src0_sel:WORD_0 src1_sel:DWORD
	v_lshrrev_b32_e32 v86, 17, v1
	v_mul_lo_u16_e32 v1, 3, v86
	v_sub_u16_e32 v87, v82, v1
	v_mul_u32_u24_e32 v1, 9, v87
	v_lshlrev_b32_e32 v40, 3, v1
	v_mul_u32_u24_sdwa v1, v89, v85 dst_sel:DWORD dst_unused:UNUSED_PAD src0_sel:BYTE_0 src1_sel:DWORD
	s_waitcnt lgkmcnt(0)
	s_barrier
	global_load_dwordx2 v[10:11], v40, s[4:5] offset:64
	v_lshlrev_b32_e32 v34, 3, v1
	global_load_dwordx2 v[8:9], v34, s[4:5] offset:64
	v_lshrrev_b16_e32 v84, 9, v0
	v_mul_lo_u16_e32 v0, 3, v84
	v_sub_u16_e32 v90, v18, v0
	v_mul_u32_u24_sdwa v0, v90, v85 dst_sel:DWORD dst_unused:UNUSED_PAD src0_sel:BYTE_0 src1_sel:DWORD
	v_lshlrev_b32_e32 v91, 3, v0
	global_load_dwordx2 v[6:7], v91, s[4:5] offset:64
	global_load_dwordx4 v[0:3], v40, s[4:5] offset:48
	global_load_dwordx4 v[20:23], v34, s[4:5] offset:48
	;; [unrolled: 1-line block ×8, first 2 shown]
	ds_read2_b64 v[12:15], v73 offset0:88 offset1:178
	ds_read2_b64 v[24:27], v70 offset0:36 offset1:126
	global_load_dwordx4 v[96:99], v34, s[4:5]
	global_load_dwordx4 v[100:103], v40, s[4:5]
	s_mov_b32 s6, 0x3f737871
	s_mov_b32 s15, s6
	s_waitcnt vmcnt(12) lgkmcnt(1)
	v_pk_mul_f32 v[32:33], v[14:15], v[10:11] op_sel:[0,1]
	s_nop 0
	v_pk_fma_f32 v[4:5], v[14:15], v[10:11], v[32:33] op_sel:[0,0,1] op_sel_hi:[1,1,0] neg_lo:[0,0,1] neg_hi:[0,0,1]
	v_pk_fma_f32 v[14:15], v[14:15], v[10:11], v[32:33] op_sel:[0,0,1] op_sel_hi:[1,0,0]
	s_waitcnt vmcnt(11)
	v_pk_mul_f32 v[10:11], v[12:13], v[8:9] op_sel:[0,1]
	v_mul_u32_u24_e32 v5, 0xf0, v84
	v_pk_fma_f32 v[32:33], v[12:13], v[8:9], v[10:11] op_sel:[0,0,1] op_sel_hi:[1,1,0] neg_lo:[0,0,1] neg_hi:[0,0,1]
	v_pk_fma_f32 v[52:53], v[12:13], v[8:9], v[10:11] op_sel:[0,0,1] op_sel_hi:[1,0,0]
	ds_read2_b64 v[10:13], v76 offset0:60 offset1:150
	s_waitcnt vmcnt(10) lgkmcnt(1)
	v_pk_mul_f32 v[8:9], v[26:27], v[6:7] op_sel:[0,1]
	s_waitcnt vmcnt(4)
	v_mov_b32_e32 v14, v59
	v_pk_fma_f32 v[104:105], v[26:27], v[6:7], v[8:9] op_sel:[0,0,1] op_sel_hi:[1,1,0] neg_lo:[0,0,1] neg_hi:[0,0,1]
	v_pk_fma_f32 v[106:107], v[26:27], v[6:7], v[8:9] op_sel:[0,0,1] op_sel_hi:[1,0,0]
	v_mov_b32_e32 v6, v3
	v_pk_mul_f32 v[6:7], v[24:25], v[6:7] op_sel_hi:[1,0]
	v_mov_b32_e32 v105, v107
	v_pk_fma_f32 v[8:9], v[24:25], v[2:3], v[6:7] op_sel:[0,0,1] op_sel_hi:[1,1,0] neg_lo:[0,0,1] neg_hi:[0,0,1]
	v_pk_fma_f32 v[24:25], v[24:25], v[2:3], v[6:7] op_sel:[0,0,1] op_sel_hi:[1,0,0]
	s_waitcnt lgkmcnt(0)
	v_pk_mul_f32 v[2:3], v[12:13], v[0:1] op_sel:[0,1]
	v_mov_b32_e32 v84, 3
	v_pk_fma_f32 v[6:7], v[12:13], v[0:1], v[2:3] op_sel:[0,0,1] op_sel_hi:[1,1,0] neg_lo:[0,0,1] neg_hi:[0,0,1]
	v_pk_fma_f32 v[26:27], v[12:13], v[0:1], v[2:3] op_sel:[0,0,1] op_sel_hi:[1,0,0]
	ds_read2_b64 v[0:3], v19 offset0:112 offset1:202
	v_pk_mul_f32 v[12:13], v[10:11], v[20:21] op_sel:[0,1]
	v_lshlrev_b32_sdwa v7, v84, v90 dst_sel:DWORD dst_unused:UNUSED_PAD src0_sel:DWORD src1_sel:BYTE_0
	v_pk_fma_f32 v[42:43], v[10:11], v[20:21], v[12:13] op_sel:[0,0,1] op_sel_hi:[1,1,0] neg_lo:[0,0,1] neg_hi:[0,0,1]
	v_pk_fma_f32 v[60:61], v[10:11], v[20:21], v[12:13] op_sel:[0,0,1] op_sel_hi:[1,0,0]
	v_mov_b32_e32 v10, v23
	s_waitcnt lgkmcnt(0)
	v_pk_mul_f32 v[10:11], v[2:3], v[10:11] op_sel_hi:[1,0]
	v_add3_u32 v5, 0, v5, v7
	v_pk_fma_f32 v[44:45], v[2:3], v[22:23], v[10:11] op_sel:[0,0,1] op_sel_hi:[1,1,0] neg_lo:[0,0,1] neg_hi:[0,0,1]
	v_pk_fma_f32 v[62:63], v[2:3], v[22:23], v[10:11] op_sel:[0,0,1] op_sel_hi:[1,0,0]
	ds_read2_b64 v[20:23], v79 offset0:8 offset1:98
	v_mov_b32_e32 v2, v31
	v_pk_mul_f32 v[2:3], v[0:1], v[2:3] op_sel_hi:[1,0]
	v_mov_b32_e32 v10, v39
	v_pk_fma_f32 v[108:109], v[0:1], v[30:31], v[2:3] op_sel:[0,0,1] op_sel_hi:[1,1,0] neg_lo:[0,0,1] neg_hi:[0,0,1]
	v_pk_fma_f32 v[110:111], v[0:1], v[30:31], v[2:3] op_sel:[0,0,1] op_sel_hi:[1,0,0]
	s_waitcnt lgkmcnt(0)
	v_pk_mul_f32 v[0:1], v[22:23], v[28:29] op_sel:[0,1]
	v_pk_mul_f32 v[12:13], v[20:21], v[10:11] op_sel_hi:[1,0]
	v_pk_fma_f32 v[112:113], v[22:23], v[28:29], v[0:1] op_sel:[0,0,1] op_sel_hi:[1,1,0] neg_lo:[0,0,1] neg_hi:[0,0,1]
	v_pk_fma_f32 v[114:115], v[22:23], v[28:29], v[0:1] op_sel:[0,0,1] op_sel_hi:[1,0,0]
	ds_read2_b64 v[0:3], v71 offset0:160 offset1:250
	global_load_dwordx4 v[28:31], v91, s[4:5] offset:16
	v_pk_fma_f32 v[10:11], v[20:21], v[38:39], v[12:13] op_sel:[0,0,1] op_sel_hi:[1,1,0] neg_lo:[0,0,1] neg_hi:[0,0,1]
	v_pk_fma_f32 v[34:35], v[20:21], v[38:39], v[12:13] op_sel:[0,0,1] op_sel_hi:[1,0,0]
	v_mov_b32_e32 v109, v111
	s_waitcnt lgkmcnt(0)
	v_pk_mul_f32 v[20:21], v[2:3], v[36:37] op_sel:[0,1]
	v_mov_b32_e32 v113, v115
	v_pk_fma_f32 v[12:13], v[2:3], v[36:37], v[20:21] op_sel:[0,0,1] op_sel_hi:[1,1,0] neg_lo:[0,0,1] neg_hi:[0,0,1]
	v_pk_fma_f32 v[36:37], v[2:3], v[36:37], v[20:21] op_sel:[0,0,1] op_sel_hi:[1,0,0]
	ds_read2_b64 v[20:23], v75 offset0:84 offset1:174
	v_pk_mul_f32 v[2:3], v[0:1], v[46:47] op_sel:[0,1]
	v_mov_b32_e32 v45, v63
	v_pk_fma_f32 v[50:51], v[0:1], v[46:47], v[2:3] op_sel:[0,0,1] op_sel_hi:[1,1,0] neg_lo:[0,0,1] neg_hi:[0,0,1]
	v_pk_fma_f32 v[116:117], v[0:1], v[46:47], v[2:3] op_sel:[0,0,1] op_sel_hi:[1,0,0]
	v_mov_b32_e32 v0, v49
	s_waitcnt lgkmcnt(0)
	v_pk_mul_f32 v[0:1], v[22:23], v[0:1] op_sel_hi:[1,0]
	v_mov_b32_e32 v33, v53
	v_pk_fma_f32 v[54:55], v[22:23], v[48:49], v[0:1] op_sel:[0,0,1] op_sel_hi:[1,1,0] neg_lo:[0,0,1] neg_hi:[0,0,1]
	v_pk_fma_f32 v[118:119], v[22:23], v[48:49], v[0:1] op_sel:[0,0,1] op_sel_hi:[1,0,0]
	ds_read2_b64 v[0:3], v69 offset0:108 offset1:198
	ds_read2_b64 v[46:49], v80 offset0:132 offset1:222
	v_pk_mul_f32 v[22:23], v[20:21], v[14:15] op_sel_hi:[1,0]
	s_waitcnt vmcnt(3)
	v_mov_b32_e32 v14, v95
	v_pk_fma_f32 v[120:121], v[20:21], v[58:59], v[22:23] op_sel:[0,0,1] op_sel_hi:[1,1,0] neg_lo:[0,0,1] neg_hi:[0,0,1]
	v_pk_fma_f32 v[122:123], v[20:21], v[58:59], v[22:23] op_sel:[0,0,1] op_sel_hi:[1,0,0]
	s_waitcnt lgkmcnt(1)
	v_pk_mul_f32 v[20:21], v[2:3], v[56:57] op_sel:[0,1]
	v_mov_b32_e32 v121, v123
	v_pk_fma_f32 v[124:125], v[2:3], v[56:57], v[20:21] op_sel:[0,0,1] op_sel_hi:[1,1,0] neg_lo:[0,0,1] neg_hi:[0,0,1]
	v_pk_fma_f32 v[126:127], v[2:3], v[56:57], v[20:21] op_sel:[0,0,1] op_sel_hi:[1,0,0]
	v_mov_b32_e32 v2, v67
	v_pk_mul_f32 v[2:3], v[0:1], v[2:3] op_sel_hi:[1,0]
	v_mov_b32_e32 v125, v127
	v_pk_fma_f32 v[22:23], v[0:1], v[66:67], v[2:3] op_sel:[0,0,1] op_sel_hi:[1,1,0] neg_lo:[0,0,1] neg_hi:[0,0,1]
	v_pk_fma_f32 v[38:39], v[0:1], v[66:67], v[2:3] op_sel:[0,0,1] op_sel_hi:[1,0,0]
	s_waitcnt lgkmcnt(0)
	v_pk_mul_f32 v[0:1], v[48:49], v[64:65] op_sel:[0,1]
	v_pk_add_f32 v[126:127], v[104:105], v[112:113] neg_lo:[0,1] neg_hi:[0,1]
	v_pk_fma_f32 v[20:21], v[48:49], v[64:65], v[0:1] op_sel:[0,0,1] op_sel_hi:[1,1,0] neg_lo:[0,0,1] neg_hi:[0,0,1]
	v_pk_fma_f32 v[40:41], v[48:49], v[64:65], v[0:1] op_sel:[0,0,1] op_sel_hi:[1,0,0]
	ds_read2_b64 v[0:3], v78 offset0:56 offset1:146
	v_pk_mul_f32 v[48:49], v[46:47], v[92:93] op_sel:[0,1]
	v_mov_b32_e32 v55, v119
	v_pk_fma_f32 v[56:57], v[46:47], v[92:93], v[48:49] op_sel:[0,0,1] op_sel_hi:[1,1,0] neg_lo:[0,0,1] neg_hi:[0,0,1]
	v_pk_fma_f32 v[128:129], v[46:47], v[92:93], v[48:49] op_sel:[0,0,1] op_sel_hi:[1,0,0]
	s_waitcnt lgkmcnt(0)
	v_pk_mul_f32 v[46:47], v[2:3], v[14:15] op_sel_hi:[1,0]
	s_waitcnt vmcnt(2)
	v_mov_b32_e32 v14, v99
	v_pk_fma_f32 v[58:59], v[2:3], v[94:95], v[46:47] op_sel:[0,0,1] op_sel_hi:[1,1,0] neg_lo:[0,0,1] neg_hi:[0,0,1]
	v_pk_fma_f32 v[130:131], v[2:3], v[94:95], v[46:47] op_sel:[0,0,1] op_sel_hi:[1,0,0]
	global_load_dwordx4 v[92:95], v91, s[4:5]
	v_mov_b32_e32 v59, v131
	v_pk_add_f32 v[52:53], v[44:45], v[54:55] neg_lo:[0,1] neg_hi:[0,1]
	v_mov_b32_e32 v43, v61
	v_mov_b32_e32 v57, v129
	;; [unrolled: 1-line block ×3, first 2 shown]
	v_lshlrev_b32_sdwa v7, v84, v89 dst_sel:DWORD dst_unused:UNUSED_PAD src0_sel:DWORD src1_sel:BYTE_0
	v_mov_b32_e32 v9, v25
	v_mov_b32_e32 v23, v39
	v_mov_b32_e32 v11, v35
	v_mov_b32_e32 v13, v37
	v_pk_add_f32 v[36:37], v[8:9], v[10:11] neg_lo:[0,1] neg_hi:[0,1]
	v_mov_b32_e32 v21, v41
	s_waitcnt vmcnt(1)
	v_mov_b32_e32 v2, v31
	v_pk_mul_f32 v[2:3], v[0:1], v[2:3] op_sel_hi:[1,0]
	s_nop 0
	v_pk_fma_f32 v[132:133], v[0:1], v[30:31], v[2:3] op_sel:[0,0,1] op_sel_hi:[1,1,0] neg_lo:[0,0,1] neg_hi:[0,0,1]
	v_pk_fma_f32 v[134:135], v[0:1], v[30:31], v[2:3] op_sel:[0,0,1] op_sel_hi:[1,0,0]
	ds_read2_b64 v[0:3], v77 offset0:80 offset1:170
	v_mov_b32_e32 v133, v135
	s_waitcnt lgkmcnt(0)
	v_pk_mul_f32 v[30:31], v[2:3], v[28:29] op_sel:[0,1]
	s_nop 0
	v_pk_fma_f32 v[136:137], v[2:3], v[28:29], v[30:31] op_sel:[0,0,1] op_sel_hi:[1,1,0] neg_lo:[0,0,1] neg_hi:[0,0,1]
	v_pk_fma_f32 v[138:139], v[2:3], v[28:29], v[30:31] op_sel:[0,0,1] op_sel_hi:[1,0,0]
	v_mov_b32_e32 v2, v103
	v_pk_mul_f32 v[2:3], v[0:1], v[2:3] op_sel_hi:[1,0]
	v_mov_b32_e32 v137, v139
	v_pk_fma_f32 v[28:29], v[0:1], v[102:103], v[2:3] op_sel:[0,0,1] op_sel_hi:[1,1,0] neg_lo:[0,0,1] neg_hi:[0,0,1]
	v_pk_fma_f32 v[46:47], v[0:1], v[102:103], v[2:3] op_sel:[0,0,1] op_sel_hi:[1,0,0]
	ds_read2_b64 v[0:3], v74 offset0:104 offset1:194
	v_pk_add_f32 v[134:135], v[136:137], v[104:105] neg_lo:[0,1] neg_hi:[0,1]
	v_mov_b32_e32 v29, v47
	v_pk_mul_f32 v[138:139], v[134:135], s[6:7] op_sel_hi:[1,0]
	v_pk_add_f32 v[34:35], v[28:29], v[22:23] neg_lo:[0,1] neg_hi:[0,1]
	s_waitcnt lgkmcnt(0)
	v_pk_mul_f32 v[48:49], v[2:3], v[100:101] op_sel:[0,1]
	v_pk_add_f32 v[34:35], v[34:35], v[36:37]
	v_pk_fma_f32 v[30:31], v[2:3], v[100:101], v[48:49] op_sel:[0,0,1] op_sel_hi:[1,1,0] neg_lo:[0,0,1] neg_hi:[0,0,1]
	v_pk_fma_f32 v[48:49], v[2:3], v[100:101], v[48:49] op_sel:[0,0,1] op_sel_hi:[1,0,0]
	v_pk_mul_f32 v[2:3], v[0:1], v[96:97] op_sel:[0,1]
	v_mov_b32_e32 v31, v49
	v_pk_fma_f32 v[64:65], v[0:1], v[96:97], v[2:3] op_sel:[0,0,1] op_sel_hi:[1,1,0] neg_lo:[0,0,1] neg_hi:[0,0,1]
	v_pk_fma_f32 v[96:97], v[0:1], v[96:97], v[2:3] op_sel:[0,0,1] op_sel_hi:[1,0,0]
	ds_read2_b64 v[0:3], v72 offset0:28 offset1:118
	v_mov_b32_e32 v65, v97
	v_pk_add_f32 v[96:97], v[32:33], v[42:43] neg_lo:[0,1] neg_hi:[0,1]
	s_waitcnt lgkmcnt(0)
	v_pk_mul_f32 v[100:101], v[2:3], v[14:15] op_sel_hi:[1,0]
	s_nop 0
	v_pk_fma_f32 v[66:67], v[2:3], v[98:99], v[100:101] op_sel:[0,0,1] op_sel_hi:[1,1,0] neg_lo:[0,0,1] neg_hi:[0,0,1]
	v_pk_fma_f32 v[98:99], v[2:3], v[98:99], v[100:101] op_sel:[0,0,1] op_sel_hi:[1,0,0]
	s_waitcnt vmcnt(0)
	v_mov_b32_e32 v2, v95
	v_pk_mul_f32 v[2:3], v[0:1], v[2:3] op_sel_hi:[1,0]
	v_mov_b32_e32 v67, v99
	v_pk_fma_f32 v[100:101], v[0:1], v[94:95], v[2:3] op_sel:[0,0,1] op_sel_hi:[1,1,0] neg_lo:[0,0,1] neg_hi:[0,0,1]
	v_pk_fma_f32 v[94:95], v[0:1], v[94:95], v[2:3] op_sel:[0,0,1] op_sel_hi:[1,0,0]
	ds_read2_b64 v[0:3], v81 offset0:52 offset1:142
	v_mov_b32_e32 v101, v95
	v_pk_add_f32 v[106:107], v[100:101], v[108:109] neg_lo:[0,1] neg_hi:[0,1]
	v_pk_add_f32 v[60:61], v[66:67], v[44:45] neg_lo:[0,1] neg_hi:[0,1]
	v_pk_mul_f32 v[110:111], v[106:107], s[6:7] op_sel_hi:[1,0]
	s_waitcnt lgkmcnt(0)
	v_pk_mul_f32 v[102:103], v[92:93], v[2:3] op_sel:[0,1]
	v_pk_mul_f32 v[62:63], v[60:61], s[6:7] op_sel_hi:[1,0]
	v_pk_fma_f32 v[140:141], v[92:93], v[2:3], v[102:103] op_sel:[0,0,1] op_sel_hi:[1,1,0] neg_lo:[0,0,1] neg_hi:[0,0,1]
	v_pk_fma_f32 v[2:3], v[92:93], v[2:3], v[102:103] op_sel:[0,0,1] op_sel_hi:[1,0,0]
	v_pk_add_f32 v[92:93], v[108:109], v[120:121] neg_lo:[0,1] neg_hi:[0,1]
	v_mov_b32_e32 v141, v3
	v_pk_add_f32 v[2:3], v[100:101], v[132:133] neg_lo:[0,1] neg_hi:[0,1]
	v_pk_add_f32 v[102:103], v[132:133], v[120:121]
	v_pk_add_f32 v[2:3], v[2:3], v[92:93]
	ds_read2_b64 v[92:95], v68 offset1:90
	s_waitcnt lgkmcnt(0)
	s_barrier
	v_pk_add_f32 v[98:99], v[56:57], v[32:33] neg_lo:[0,1] neg_hi:[0,1]
	v_pk_fma_f32 v[102:103], v[102:103], 0.5, v[92:93] op_sel_hi:[1,0,1] neg_lo:[1,0,0] neg_hi:[1,0,0]
	v_pk_add_f32 v[90:91], v[92:93], v[100:101]
	v_pk_add_f32 v[114:115], v[102:103], v[110:111] op_sel:[0,1] op_sel_hi:[1,0]
	v_pk_add_f32 v[102:103], v[102:103], v[110:111] op_sel:[0,1] op_sel_hi:[1,0] neg_lo:[0,1] neg_hi:[0,1]
	v_pk_add_f32 v[110:111], v[132:133], v[120:121] neg_lo:[0,1] neg_hi:[0,1]
	v_pk_add_f32 v[90:91], v[90:91], v[132:133]
	v_pk_mul_f32 v[122:123], v[110:111], s[10:11] op_sel_hi:[1,0]
	v_pk_add_f32 v[90:91], v[90:91], v[120:121]
	v_pk_add_f32 v[102:103], v[102:103], v[122:123] op_sel:[0,1] op_sel_hi:[1,0] neg_lo:[0,1] neg_hi:[0,1]
	v_pk_add_f32 v[114:115], v[114:115], v[122:123] op_sel:[0,1] op_sel_hi:[1,0]
	v_pk_add_f32 v[122:123], v[136:137], v[124:125] neg_lo:[0,1] neg_hi:[0,1]
	v_pk_add_f32 v[132:133], v[132:133], v[100:101] neg_lo:[0,1] neg_hi:[0,1]
	v_pk_add_f32 v[122:123], v[122:123], v[126:127]
	v_pk_add_f32 v[126:127], v[124:125], v[112:113]
	;; [unrolled: 1-line block ×3, first 2 shown]
	v_pk_fma_f32 v[126:127], v[126:127], 0.5, v[140:141] op_sel_hi:[1,0,1] neg_lo:[1,0,0] neg_hi:[1,0,0]
	v_pk_add_f32 v[90:91], v[90:91], v[108:109]
	v_pk_add_f32 v[142:143], v[126:127], v[138:139] op_sel:[0,1] op_sel_hi:[1,0]
	v_pk_add_f32 v[126:127], v[126:127], v[138:139] op_sel:[0,1] op_sel_hi:[1,0] neg_lo:[0,1] neg_hi:[0,1]
	v_pk_add_f32 v[138:139], v[124:125], v[112:113] neg_lo:[0,1] neg_hi:[0,1]
	v_pk_add_f32 v[108:109], v[120:121], v[108:109] neg_lo:[0,1] neg_hi:[0,1]
	v_pk_mul_f32 v[144:145], v[138:139], s[10:11] op_sel_hi:[1,0]
	v_pk_add_f32 v[120:121], v[136:137], v[104:105]
	v_pk_add_f32 v[126:127], v[126:127], v[144:145] op_sel:[0,1] op_sel_hi:[1,0] neg_lo:[0,1] neg_hi:[0,1]
	v_pk_add_f32 v[142:143], v[142:143], v[144:145] op_sel:[0,1] op_sel_hi:[1,0]
	v_mov_b32_e32 v145, v127
	v_mov_b32_e32 v144, v142
	v_pk_fma_f32 v[144:145], v[122:123], s[8:9], v[144:145] op_sel_hi:[1,0,1]
	v_pk_fma_f32 v[92:93], v[100:101], 0.5, v[92:93] op_sel_hi:[1,0,1] neg_lo:[1,0,0] neg_hi:[1,0,0]
	v_pk_mul_f32 v[146:147], v[144:145], s[10:11] op_sel_hi:[1,0]
	v_pk_mul_f32 v[100:101], v[110:111], s[6:7] op_sel_hi:[1,0]
	v_pk_fma_f32 v[148:149], v[144:145], s[12:13], v[146:147] op_sel:[0,0,1] op_sel_hi:[1,0,0]
	v_pk_fma_f32 v[144:145], v[144:145], s[12:13], v[146:147] op_sel:[0,0,1] op_sel_hi:[1,0,0] neg_lo:[0,0,1] neg_hi:[0,0,1]
	v_pk_fma_f32 v[120:121], v[120:121], 0.5, v[140:141] op_sel_hi:[1,0,1] neg_lo:[1,0,0] neg_hi:[1,0,0]
	v_mov_b32_e32 v149, v145
	v_pk_add_f32 v[144:145], v[140:141], v[136:137]
	v_pk_add_f32 v[110:111], v[92:93], v[100:101] op_sel:[0,1] op_sel_hi:[1,0] neg_lo:[0,1] neg_hi:[0,1]
	v_pk_add_f32 v[144:145], v[144:145], v[124:125]
	v_pk_add_f32 v[92:93], v[92:93], v[100:101] op_sel:[0,1] op_sel_hi:[1,0]
	v_pk_add_f32 v[144:145], v[144:145], v[112:113]
	v_pk_mul_f32 v[100:101], v[106:107], s[10:11] op_sel_hi:[1,0]
	v_pk_mul_f32 v[106:107], v[138:139], s[6:7] op_sel_hi:[1,0]
	v_pk_add_f32 v[144:145], v[144:145], v[104:105]
	v_pk_add_f32 v[104:105], v[112:113], v[104:105] neg_lo:[0,1] neg_hi:[0,1]
	v_pk_add_f32 v[92:93], v[92:93], v[100:101] op_sel:[0,1] op_sel_hi:[1,0] neg_lo:[0,1] neg_hi:[0,1]
	v_pk_add_f32 v[100:101], v[110:111], v[100:101] op_sel:[0,1] op_sel_hi:[1,0]
	v_pk_add_f32 v[110:111], v[120:121], v[106:107] op_sel:[0,1] op_sel_hi:[1,0] neg_lo:[0,1] neg_hi:[0,1]
	v_pk_add_f32 v[106:107], v[120:121], v[106:107] op_sel:[0,1] op_sel_hi:[1,0]
	v_pk_mul_f32 v[112:113], v[134:135], s[10:11] op_sel_hi:[1,0]
	v_pk_add_f32 v[124:125], v[124:125], v[136:137] neg_lo:[0,1] neg_hi:[0,1]
	v_pk_add_f32 v[106:107], v[106:107], v[112:113] op_sel:[0,1] op_sel_hi:[1,0] neg_lo:[0,1] neg_hi:[0,1]
	v_pk_add_f32 v[110:111], v[110:111], v[112:113] op_sel:[0,1] op_sel_hi:[1,0]
	v_pk_add_f32 v[104:105], v[124:125], v[104:105]
	v_mov_b32_e32 v112, v110
	v_mov_b32_e32 v113, v107
	v_pk_fma_f32 v[112:113], v[104:105], s[8:9], v[112:113] op_sel_hi:[1,0,1]
	v_mov_b32_e32 v107, v111
	v_pk_mul_f32 v[120:121], v[112:113], s[6:7] op_sel_hi:[1,0]
	v_pk_fma_f32 v[104:105], v[104:105], s[8:9], v[106:107] op_sel_hi:[1,0,1]
	v_pk_fma_f32 v[124:125], v[112:113], s[8:9], v[120:121] op_sel:[0,0,1] op_sel_hi:[1,0,0]
	v_pk_fma_f32 v[112:113], v[112:113], s[8:9], v[120:121] op_sel:[0,0,1] op_sel_hi:[1,0,0] neg_lo:[0,0,1] neg_hi:[0,0,1]
	v_pk_add_f32 v[108:109], v[132:133], v[108:109]
	v_mov_b32_e32 v125, v113
	v_mov_b32_e32 v112, v100
	;; [unrolled: 1-line block ×4, first 2 shown]
	v_pk_mul_f32 v[106:107], v[104:105], s[8:9] op_sel_hi:[1,0]
	v_mov_b32_e32 v146, v114
	v_mov_b32_e32 v147, v103
	v_pk_fma_f32 v[100:101], v[108:109], s[8:9], v[112:113] op_sel_hi:[1,0,1]
	v_pk_fma_f32 v[92:93], v[108:109], s[8:9], v[92:93] op_sel_hi:[1,0,1]
	v_pk_fma_f32 v[104:105], v[104:105], s[14:15], v[106:107] op_sel:[0,0,1] op_sel_hi:[1,1,0] neg_lo:[0,0,1] neg_hi:[0,0,1]
	v_mov_b32_e32 v103, v115
	v_mov_b32_e32 v127, v143
	v_pk_fma_f32 v[146:147], v[2:3], s[8:9], v[146:147] op_sel_hi:[1,0,1]
	v_pk_add_f32 v[106:107], v[100:101], v[124:125]
	v_pk_add_f32 v[108:109], v[92:93], v[104:105] op_sel:[0,1] op_sel_hi:[1,0]
	v_pk_fma_f32 v[2:3], v[2:3], s[8:9], v[102:103] op_sel_hi:[1,0,1]
	v_pk_fma_f32 v[102:103], v[122:123], s[8:9], v[126:127] op_sel_hi:[1,0,1]
	ds_write2_b64 v5, v[106:107], v[108:109] offset0:6 offset1:9
	v_pk_mul_f32 v[106:107], v[102:103], s[12:13] op_sel_hi:[1,0]
	v_pk_add_f32 v[150:151], v[90:91], v[144:145]
	v_pk_fma_f32 v[102:103], v[102:103], s[16:17], v[106:107] op_sel:[0,0,1] op_sel_hi:[1,1,0] neg_lo:[0,0,1] neg_hi:[0,0,1]
	v_pk_add_f32 v[90:91], v[90:91], v[144:145] neg_lo:[0,1] neg_hi:[0,1]
	v_pk_add_f32 v[106:107], v[2:3], v[102:103] op_sel:[0,1] op_sel_hi:[1,0]
	ds_write2_b64 v5, v[106:107], v[90:91] offset0:12 offset1:15
	v_pk_add_f32 v[90:91], v[146:147], v[148:149] neg_lo:[0,1] neg_hi:[0,1]
	v_pk_add_f32 v[100:101], v[100:101], v[124:125] neg_lo:[0,1] neg_hi:[0,1]
	ds_write2_b64 v5, v[90:91], v[100:101] offset0:18 offset1:21
	v_pk_add_f32 v[90:91], v[92:93], v[104:105] op_sel:[0,1] op_sel_hi:[1,0] neg_lo:[0,1] neg_hi:[0,1]
	v_pk_add_f32 v[2:3], v[2:3], v[102:103] op_sel:[0,1] op_sel_hi:[1,0] neg_lo:[0,1] neg_hi:[0,1]
	ds_write2_b64 v5, v[90:91], v[2:3] offset0:24 offset1:27
	v_pk_add_f32 v[2:3], v[66:67], v[58:59] neg_lo:[0,1] neg_hi:[0,1]
	v_pk_mul_f32 v[100:101], v[98:99], s[6:7] op_sel_hi:[1,0]
	v_pk_add_f32 v[2:3], v[2:3], v[52:53]
	v_pk_add_f32 v[52:53], v[58:59], v[54:55]
	;; [unrolled: 1-line block ×3, first 2 shown]
	v_pk_fma_f32 v[52:53], v[52:53], 0.5, v[94:95] op_sel_hi:[1,0,1] neg_lo:[1,0,0] neg_hi:[1,0,0]
	ds_write2_b64 v5, v[150:151], v[152:153] offset1:3
	v_pk_add_f32 v[90:91], v[52:53], v[62:63] op_sel:[0,1] op_sel_hi:[1,0]
	v_pk_add_f32 v[52:53], v[52:53], v[62:63] op_sel:[0,1] op_sel_hi:[1,0] neg_lo:[0,1] neg_hi:[0,1]
	v_pk_add_f32 v[62:63], v[58:59], v[54:55] neg_lo:[0,1] neg_hi:[0,1]
	v_mul_u32_u24_e32 v5, 0xf0, v88
	v_pk_mul_f32 v[92:93], v[62:63], s[10:11] op_sel_hi:[1,0]
	v_pk_add_f32 v[88:89], v[94:95], v[66:67]
	v_pk_add_f32 v[52:53], v[52:53], v[92:93] op_sel:[0,1] op_sel_hi:[1,0] neg_lo:[0,1] neg_hi:[0,1]
	v_pk_add_f32 v[90:91], v[90:91], v[92:93] op_sel:[0,1] op_sel_hi:[1,0]
	v_pk_add_f32 v[92:93], v[56:57], v[50:51] neg_lo:[0,1] neg_hi:[0,1]
	v_pk_add_f32 v[88:89], v[88:89], v[58:59]
	v_pk_add_f32 v[92:93], v[92:93], v[96:97]
	;; [unrolled: 1-line block ×4, first 2 shown]
	v_pk_fma_f32 v[96:97], v[96:97], 0.5, v[64:65] op_sel_hi:[1,0,1] neg_lo:[1,0,0] neg_hi:[1,0,0]
	v_pk_add_f32 v[88:89], v[88:89], v[44:45]
	v_pk_add_f32 v[102:103], v[96:97], v[100:101] op_sel:[0,1] op_sel_hi:[1,0]
	v_pk_add_f32 v[96:97], v[96:97], v[100:101] op_sel:[0,1] op_sel_hi:[1,0] neg_lo:[0,1] neg_hi:[0,1]
	v_pk_add_f32 v[100:101], v[50:51], v[42:43] neg_lo:[0,1] neg_hi:[0,1]
	v_add3_u32 v26, 0, v5, v7
	v_pk_mul_f32 v[104:105], v[100:101], s[10:11] op_sel_hi:[1,0]
	v_pk_add_f32 v[58:59], v[58:59], v[66:67] neg_lo:[0,1] neg_hi:[0,1]
	v_pk_add_f32 v[96:97], v[96:97], v[104:105] op_sel:[0,1] op_sel_hi:[1,0] neg_lo:[0,1] neg_hi:[0,1]
	v_pk_add_f32 v[102:103], v[102:103], v[104:105] op_sel:[0,1] op_sel_hi:[1,0]
	v_mov_b32_e32 v105, v97
	v_mov_b32_e32 v104, v102
	v_pk_fma_f32 v[104:105], v[92:93], s[8:9], v[104:105] op_sel_hi:[1,0,1]
	v_mov_b32_e32 v97, v103
	v_pk_mul_f32 v[106:107], v[104:105], s[10:11] op_sel_hi:[1,0]
	v_mov_b32_e32 v5, v15
	v_pk_fma_f32 v[108:109], v[104:105], s[12:13], v[106:107] op_sel:[0,0,1] op_sel_hi:[1,0,0]
	v_pk_fma_f32 v[104:105], v[104:105], s[12:13], v[106:107] op_sel:[0,0,1] op_sel_hi:[1,0,0] neg_lo:[0,0,1] neg_hi:[0,0,1]
	v_mov_b32_e32 v106, v90
	v_mov_b32_e32 v109, v105
	v_pk_add_f32 v[104:105], v[64:65], v[56:57]
	v_mov_b32_e32 v107, v53
	v_pk_add_f32 v[104:105], v[104:105], v[50:51]
	v_pk_fma_f32 v[106:107], v[2:3], s[8:9], v[106:107] op_sel_hi:[1,0,1]
	v_pk_add_f32 v[104:105], v[104:105], v[42:43]
	v_pk_add_f32 v[112:113], v[106:107], v[108:109]
	;; [unrolled: 1-line block ×3, first 2 shown]
	v_pk_add_f32 v[50:51], v[50:51], v[56:57] neg_lo:[0,1] neg_hi:[0,1]
	v_pk_add_f32 v[110:111], v[88:89], v[104:105]
	ds_write2_b64 v26, v[110:111], v[112:113] offset1:3
	v_pk_add_f32 v[110:111], v[66:67], v[44:45]
	v_pk_add_f32 v[44:45], v[54:55], v[44:45] neg_lo:[0,1] neg_hi:[0,1]
	v_pk_fma_f32 v[94:95], v[110:111], 0.5, v[94:95] op_sel_hi:[1,0,1] neg_lo:[1,0,0] neg_hi:[1,0,0]
	v_pk_add_f32 v[54:55], v[56:57], v[32:33]
	v_pk_add_f32 v[32:33], v[42:43], v[32:33] neg_lo:[0,1] neg_hi:[0,1]
	v_pk_mul_f32 v[42:43], v[62:63], s[6:7] op_sel_hi:[1,0]
	v_pk_add_f32 v[32:33], v[50:51], v[32:33]
	v_pk_add_f32 v[50:51], v[94:95], v[42:43] op_sel:[0,1] op_sel_hi:[1,0] neg_lo:[0,1] neg_hi:[0,1]
	v_pk_add_f32 v[42:43], v[94:95], v[42:43] op_sel:[0,1] op_sel_hi:[1,0]
	v_pk_mul_f32 v[56:57], v[60:61], s[10:11] op_sel_hi:[1,0]
	v_pk_fma_f32 v[54:55], v[54:55], 0.5, v[64:65] op_sel_hi:[1,0,1] neg_lo:[1,0,0] neg_hi:[1,0,0]
	v_pk_add_f32 v[42:43], v[42:43], v[56:57] op_sel:[0,1] op_sel_hi:[1,0] neg_lo:[0,1] neg_hi:[0,1]
	v_pk_add_f32 v[50:51], v[50:51], v[56:57] op_sel:[0,1] op_sel_hi:[1,0]
	v_pk_mul_f32 v[56:57], v[100:101], s[6:7] op_sel_hi:[1,0]
	v_pk_add_f32 v[44:45], v[58:59], v[44:45]
	v_pk_add_f32 v[58:59], v[54:55], v[56:57] op_sel:[0,1] op_sel_hi:[1,0] neg_lo:[0,1] neg_hi:[0,1]
	v_pk_add_f32 v[54:55], v[54:55], v[56:57] op_sel:[0,1] op_sel_hi:[1,0]
	v_pk_mul_f32 v[56:57], v[98:99], s[10:11] op_sel_hi:[1,0]
	v_mov_b32_e32 v53, v91
	v_pk_add_f32 v[54:55], v[54:55], v[56:57] op_sel:[0,1] op_sel_hi:[1,0] neg_lo:[0,1] neg_hi:[0,1]
	v_pk_add_f32 v[56:57], v[58:59], v[56:57] op_sel:[0,1] op_sel_hi:[1,0]
	v_mov_b32_e32 v59, v55
	v_mov_b32_e32 v58, v56
	v_pk_fma_f32 v[58:59], v[32:33], s[8:9], v[58:59] op_sel_hi:[1,0,1]
	v_mov_b32_e32 v55, v57
	v_pk_mul_f32 v[60:61], v[58:59], s[6:7] op_sel_hi:[1,0]
	v_pk_fma_f32 v[32:33], v[32:33], s[8:9], v[54:55] op_sel_hi:[1,0,1]
	v_pk_fma_f32 v[62:63], v[58:59], s[8:9], v[60:61] op_sel:[0,0,1] op_sel_hi:[1,0,0]
	v_pk_fma_f32 v[58:59], v[58:59], s[8:9], v[60:61] op_sel:[0,0,1] op_sel_hi:[1,0,0] neg_lo:[0,0,1] neg_hi:[0,0,1]
	v_pk_fma_f32 v[2:3], v[2:3], s[8:9], v[52:53] op_sel_hi:[1,0,1]
	v_mov_b32_e32 v63, v59
	v_mov_b32_e32 v58, v50
	;; [unrolled: 1-line block ×4, first 2 shown]
	v_pk_fma_f32 v[50:51], v[44:45], s[8:9], v[58:59] op_sel_hi:[1,0,1]
	v_pk_fma_f32 v[42:43], v[44:45], s[8:9], v[42:43] op_sel_hi:[1,0,1]
	v_pk_mul_f32 v[44:45], v[32:33], s[8:9] op_sel_hi:[1,0]
	v_pk_add_f32 v[14:15], v[106:107], v[108:109] neg_lo:[0,1] neg_hi:[0,1]
	v_pk_fma_f32 v[32:33], v[32:33], s[14:15], v[44:45] op_sel:[0,0,1] op_sel_hi:[1,1,0] neg_lo:[0,0,1] neg_hi:[0,0,1]
	v_pk_add_f32 v[44:45], v[50:51], v[62:63]
	v_pk_add_f32 v[54:55], v[42:43], v[32:33] op_sel:[0,1] op_sel_hi:[1,0]
	ds_write2_b64 v26, v[44:45], v[54:55] offset0:6 offset1:9
	v_pk_fma_f32 v[44:45], v[92:93], s[8:9], v[96:97] op_sel_hi:[1,0,1]
	v_pk_add_f32 v[24:25], v[50:51], v[62:63] neg_lo:[0,1] neg_hi:[0,1]
	v_pk_mul_f32 v[52:53], v[44:45], s[12:13] op_sel_hi:[1,0]
	ds_write2_b64 v26, v[14:15], v[24:25] offset0:18 offset1:21
	v_pk_fma_f32 v[44:45], v[44:45], s[16:17], v[52:53] op_sel:[0,0,1] op_sel_hi:[1,1,0] neg_lo:[0,0,1] neg_hi:[0,0,1]
	v_pk_add_f32 v[14:15], v[42:43], v[32:33] op_sel:[0,1] op_sel_hi:[1,0] neg_lo:[0,1] neg_hi:[0,1]
	v_pk_add_f32 v[54:55], v[2:3], v[44:45] op_sel:[0,1] op_sel_hi:[1,0]
	v_pk_add_f32 v[2:3], v[2:3], v[44:45] op_sel:[0,1] op_sel_hi:[1,0] neg_lo:[0,1] neg_hi:[0,1]
	v_pk_add_f32 v[52:53], v[88:89], v[104:105] neg_lo:[0,1] neg_hi:[0,1]
	ds_write2_b64 v26, v[14:15], v[2:3] offset0:24 offset1:27
	v_pk_add_f32 v[2:3], v[22:23], v[10:11]
	v_pk_add_f32 v[14:15], v[28:29], v[8:9] neg_lo:[0,1] neg_hi:[0,1]
	ds_write2_b64 v26, v[54:55], v[52:53] offset0:12 offset1:15
	v_mov_b32_e32 v7, v27
	v_pk_fma_f32 v[2:3], v[2:3], 0.5, v[0:1] op_sel_hi:[1,0,1] neg_lo:[1,0,0] neg_hi:[1,0,0]
	v_pk_mul_f32 v[24:25], v[14:15], s[6:7] op_sel_hi:[1,0]
	v_pk_add_f32 v[26:27], v[22:23], v[10:11] neg_lo:[0,1] neg_hi:[0,1]
	v_pk_add_f32 v[36:37], v[2:3], v[24:25] op_sel:[0,1] op_sel_hi:[1,0]
	v_pk_mul_f32 v[32:33], v[26:27], s[10:11] op_sel_hi:[1,0]
	v_pk_add_f32 v[2:3], v[2:3], v[24:25] op_sel:[0,1] op_sel_hi:[1,0] neg_lo:[0,1] neg_hi:[0,1]
	v_pk_add_f32 v[24:25], v[36:37], v[32:33] op_sel:[0,1] op_sel_hi:[1,0]
	v_pk_add_f32 v[2:3], v[2:3], v[32:33] op_sel:[0,1] op_sel_hi:[1,0] neg_lo:[0,1] neg_hi:[0,1]
	v_pk_add_f32 v[32:33], v[20:21], v[12:13] neg_lo:[0,1] neg_hi:[0,1]
	v_pk_add_f32 v[36:37], v[4:5], v[6:7] neg_lo:[0,1] neg_hi:[0,1]
	;; [unrolled: 1-line block ×3, first 2 shown]
	v_pk_add_f32 v[32:33], v[32:33], v[36:37]
	v_pk_add_f32 v[36:37], v[12:13], v[6:7]
	v_pk_mul_f32 v[40:41], v[38:39], s[6:7] op_sel_hi:[1,0]
	v_pk_fma_f32 v[36:37], v[36:37], 0.5, v[30:31] op_sel_hi:[1,0,1] neg_lo:[1,0,0] neg_hi:[1,0,0]
	v_mov_b32_e32 v50, v24
	v_pk_add_f32 v[42:43], v[36:37], v[40:41] op_sel:[0,1] op_sel_hi:[1,0]
	v_pk_add_f32 v[36:37], v[36:37], v[40:41] op_sel:[0,1] op_sel_hi:[1,0] neg_lo:[0,1] neg_hi:[0,1]
	v_pk_add_f32 v[40:41], v[12:13], v[6:7] neg_lo:[0,1] neg_hi:[0,1]
	v_mov_b32_e32 v51, v3
	v_pk_mul_f32 v[44:45], v[40:41], s[10:11] op_sel_hi:[1,0]
	v_pk_fma_f32 v[50:51], v[34:35], s[8:9], v[50:51] op_sel_hi:[1,0,1]
	v_pk_add_f32 v[36:37], v[36:37], v[44:45] op_sel:[0,1] op_sel_hi:[1,0] neg_lo:[0,1] neg_hi:[0,1]
	v_pk_add_f32 v[42:43], v[42:43], v[44:45] op_sel:[0,1] op_sel_hi:[1,0]
	v_mov_b32_e32 v45, v37
	v_mov_b32_e32 v44, v42
	v_pk_fma_f32 v[44:45], v[32:33], s[8:9], v[44:45] op_sel_hi:[1,0,1]
	v_mul_u32_u24_e32 v37, 0xf0, v86
	v_pk_mul_f32 v[46:47], v[44:45], s[10:11] op_sel_hi:[1,0]
	v_lshlrev_b32_e32 v42, 3, v87
	v_pk_fma_f32 v[48:49], v[44:45], s[12:13], v[46:47] op_sel:[0,0,1] op_sel_hi:[1,0,0]
	v_pk_fma_f32 v[44:45], v[44:45], s[12:13], v[46:47] op_sel:[0,0,1] op_sel_hi:[1,0,0] neg_lo:[0,0,1] neg_hi:[0,0,1]
	v_pk_add_f32 v[46:47], v[30:31], v[20:21]
	v_mov_b32_e32 v49, v45
	v_pk_add_f32 v[44:45], v[0:1], v[28:29]
	v_pk_add_f32 v[46:47], v[46:47], v[12:13]
	;; [unrolled: 1-line block ×7, first 2 shown]
	v_add3_u32 v42, 0, v37, v42
	v_pk_add_f32 v[52:53], v[44:45], v[46:47]
	v_pk_add_f32 v[54:55], v[50:51], v[48:49]
	ds_write2_b64 v42, v[52:53], v[54:55] offset1:3
	v_pk_add_f32 v[52:53], v[28:29], v[8:9]
	v_pk_add_f32 v[8:9], v[10:11], v[8:9] neg_lo:[0,1] neg_hi:[0,1]
	v_pk_fma_f32 v[0:1], v[52:53], 0.5, v[0:1] op_sel_hi:[1,0,1] neg_lo:[1,0,0] neg_hi:[1,0,0]
	v_pk_add_f32 v[10:11], v[20:21], v[4:5]
	v_pk_add_f32 v[12:13], v[12:13], v[20:21] neg_lo:[0,1] neg_hi:[0,1]
	v_pk_add_f32 v[4:5], v[6:7], v[4:5] neg_lo:[0,1] neg_hi:[0,1]
	v_pk_mul_f32 v[6:7], v[26:27], s[6:7] op_sel_hi:[1,0]
	v_pk_add_f32 v[4:5], v[12:13], v[4:5]
	v_pk_mul_f32 v[12:13], v[14:15], s[10:11] op_sel_hi:[1,0]
	v_pk_add_f32 v[14:15], v[0:1], v[6:7] op_sel:[0,1] op_sel_hi:[1,0] neg_lo:[0,1] neg_hi:[0,1]
	v_pk_add_f32 v[0:1], v[0:1], v[6:7] op_sel:[0,1] op_sel_hi:[1,0]
	v_pk_fma_f32 v[10:11], v[10:11], 0.5, v[30:31] op_sel_hi:[1,0,1] neg_lo:[1,0,0] neg_hi:[1,0,0]
	v_pk_add_f32 v[0:1], v[0:1], v[12:13] op_sel:[0,1] op_sel_hi:[1,0] neg_lo:[0,1] neg_hi:[0,1]
	v_pk_add_f32 v[6:7], v[14:15], v[12:13] op_sel:[0,1] op_sel_hi:[1,0]
	v_pk_mul_f32 v[12:13], v[40:41], s[6:7] op_sel_hi:[1,0]
	v_pk_mul_f32 v[14:15], v[38:39], s[10:11] op_sel_hi:[1,0]
	v_pk_add_f32 v[20:21], v[10:11], v[12:13] op_sel:[0,1] op_sel_hi:[1,0] neg_lo:[0,1] neg_hi:[0,1]
	v_pk_add_f32 v[10:11], v[10:11], v[12:13] op_sel:[0,1] op_sel_hi:[1,0]
	v_pk_add_f32 v[12:13], v[20:21], v[14:15] op_sel:[0,1] op_sel_hi:[1,0]
	v_pk_add_f32 v[10:11], v[10:11], v[14:15] op_sel:[0,1] op_sel_hi:[1,0] neg_lo:[0,1] neg_hi:[0,1]
	v_mov_b32_e32 v14, v12
	v_mov_b32_e32 v15, v11
	v_pk_fma_f32 v[14:15], v[4:5], s[8:9], v[14:15] op_sel_hi:[1,0,1]
	v_mov_b32_e32 v11, v13
	v_pk_add_f32 v[22:23], v[22:23], v[28:29] neg_lo:[0,1] neg_hi:[0,1]
	v_pk_mul_f32 v[20:21], v[14:15], s[6:7] op_sel_hi:[1,0]
	v_pk_fma_f32 v[4:5], v[4:5], s[8:9], v[10:11] op_sel_hi:[1,0,1]
	v_pk_add_f32 v[8:9], v[22:23], v[8:9]
	v_pk_fma_f32 v[22:23], v[14:15], s[8:9], v[20:21] op_sel:[0,0,1] op_sel_hi:[1,0,0]
	v_pk_fma_f32 v[14:15], v[14:15], s[8:9], v[20:21] op_sel:[0,0,1] op_sel_hi:[1,0,0] neg_lo:[0,0,1] neg_hi:[0,0,1]
	v_mov_b32_e32 v20, v6
	v_mov_b32_e32 v21, v1
	;; [unrolled: 1-line block ×3, first 2 shown]
	v_pk_mul_f32 v[6:7], v[4:5], s[8:9] op_sel_hi:[1,0]
	v_pk_fma_f32 v[20:21], v[8:9], s[8:9], v[20:21] op_sel_hi:[1,0,1]
	v_mov_b32_e32 v23, v15
	v_pk_fma_f32 v[0:1], v[8:9], s[8:9], v[0:1] op_sel_hi:[1,0,1]
	v_pk_fma_f32 v[4:5], v[4:5], s[14:15], v[6:7] op_sel:[0,0,1] op_sel_hi:[1,1,0] neg_lo:[0,0,1] neg_hi:[0,0,1]
	v_pk_add_f32 v[14:15], v[20:21], v[22:23]
	v_pk_add_f32 v[6:7], v[0:1], v[4:5] op_sel:[0,1] op_sel_hi:[1,0]
	v_mov_b32_e32 v37, v43
	ds_write2_b64 v42, v[14:15], v[6:7] offset0:6 offset1:9
	v_pk_fma_f32 v[6:7], v[32:33], s[8:9], v[36:37] op_sel_hi:[1,0,1]
	v_mov_b32_e32 v3, v25
	v_pk_mul_f32 v[8:9], v[6:7], s[12:13] op_sel_hi:[1,0]
	v_pk_fma_f32 v[2:3], v[34:35], s[8:9], v[2:3] op_sel_hi:[1,0,1]
	v_pk_fma_f32 v[6:7], v[6:7], s[16:17], v[8:9] op_sel:[0,0,1] op_sel_hi:[1,1,0] neg_lo:[0,0,1] neg_hi:[0,0,1]
	v_pk_add_f32 v[0:1], v[0:1], v[4:5] op_sel:[0,1] op_sel_hi:[1,0] neg_lo:[0,1] neg_hi:[0,1]
	v_pk_add_f32 v[8:9], v[2:3], v[6:7] op_sel:[0,1] op_sel_hi:[1,0]
	v_pk_add_f32 v[2:3], v[2:3], v[6:7] op_sel:[0,1] op_sel_hi:[1,0] neg_lo:[0,1] neg_hi:[0,1]
	s_movk_i32 s7, 0x89
	ds_write2_b64 v42, v[0:1], v[2:3] offset0:24 offset1:27
	v_mul_lo_u16_sdwa v1, v83, s7 dst_sel:DWORD dst_unused:UNUSED_PAD src0_sel:BYTE_0 src1_sel:DWORD
	v_lshrrev_b16_e32 v86, 12, v1
	v_mul_lo_u16_sdwa v0, v18, s7 dst_sel:DWORD dst_unused:UNUSED_PAD src0_sel:BYTE_0 src1_sel:DWORD
	v_mul_lo_u16_e32 v1, 30, v86
	s_mov_b32 s7, 0x8889
	v_sub_u16_e32 v87, v83, v1
	v_mul_u32_u24_sdwa v1, v82, s7 dst_sel:DWORD dst_unused:UNUSED_PAD src0_sel:WORD_0 src1_sel:DWORD
	v_lshrrev_b32_e32 v66, 20, v1
	v_mul_lo_u16_e32 v1, 30, v66
	v_sub_u16_e32 v67, v82, v1
	v_pk_add_f32 v[10:11], v[44:45], v[46:47] neg_lo:[0,1] neg_hi:[0,1]
	v_mul_u32_u24_e32 v1, 9, v67
	ds_write2_b64 v42, v[8:9], v[10:11] offset0:12 offset1:15
	v_pk_add_f32 v[8:9], v[50:51], v[48:49] neg_lo:[0,1] neg_hi:[0,1]
	v_pk_add_f32 v[10:11], v[20:21], v[22:23] neg_lo:[0,1] neg_hi:[0,1]
	v_lshlrev_b32_e32 v40, 3, v1
	v_mul_u32_u24_sdwa v1, v87, v85 dst_sel:DWORD dst_unused:UNUSED_PAD src0_sel:BYTE_0 src1_sel:DWORD
	ds_write2_b64 v42, v[8:9], v[10:11] offset0:18 offset1:21
	s_waitcnt lgkmcnt(0)
	s_barrier
	global_load_dwordx2 v[10:11], v40, s[4:5] offset:280
	v_lshlrev_b32_e32 v34, 3, v1
	global_load_dwordx2 v[8:9], v34, s[4:5] offset:280
	v_lshrrev_b16_e32 v88, 12, v0
	v_mul_lo_u16_e32 v0, 30, v88
	v_sub_u16_e32 v89, v18, v0
	v_mul_u32_u24_sdwa v0, v89, v85 dst_sel:DWORD dst_unused:UNUSED_PAD src0_sel:BYTE_0 src1_sel:DWORD
	v_lshlrev_b32_e32 v64, 3, v0
	global_load_dwordx2 v[6:7], v64, s[4:5] offset:280
	global_load_dwordx4 v[0:3], v40, s[4:5] offset:264
	global_load_dwordx4 v[20:23], v34, s[4:5] offset:264
	;; [unrolled: 1-line block ×8, first 2 shown]
	ds_read2_b64 v[12:15], v73 offset0:88 offset1:178
	ds_read2_b64 v[24:27], v70 offset0:36 offset1:126
	global_load_dwordx4 v[98:101], v34, s[4:5] offset:216
	global_load_dwordx4 v[102:105], v40, s[4:5] offset:216
	s_waitcnt vmcnt(12) lgkmcnt(1)
	v_pk_mul_f32 v[32:33], v[14:15], v[10:11] op_sel:[0,1]
	s_nop 0
	v_pk_fma_f32 v[4:5], v[14:15], v[10:11], v[32:33] op_sel:[0,0,1] op_sel_hi:[1,1,0] neg_lo:[0,0,1] neg_hi:[0,0,1]
	v_pk_fma_f32 v[14:15], v[14:15], v[10:11], v[32:33] op_sel:[0,0,1] op_sel_hi:[1,0,0]
	s_waitcnt vmcnt(11)
	v_pk_mul_f32 v[10:11], v[12:13], v[8:9] op_sel:[0,1]
	v_mul_u32_u24_e32 v5, 0x960, v88
	v_pk_fma_f32 v[32:33], v[12:13], v[8:9], v[10:11] op_sel:[0,0,1] op_sel_hi:[1,1,0] neg_lo:[0,0,1] neg_hi:[0,0,1]
	v_pk_fma_f32 v[52:53], v[12:13], v[8:9], v[10:11] op_sel:[0,0,1] op_sel_hi:[1,0,0]
	ds_read2_b64 v[10:13], v76 offset0:60 offset1:150
	s_waitcnt vmcnt(10) lgkmcnt(1)
	v_pk_mul_f32 v[8:9], v[26:27], v[6:7] op_sel:[0,1]
	s_waitcnt vmcnt(4)
	v_mov_b32_e32 v14, v59
	v_pk_fma_f32 v[106:107], v[26:27], v[6:7], v[8:9] op_sel:[0,0,1] op_sel_hi:[1,1,0] neg_lo:[0,0,1] neg_hi:[0,0,1]
	v_pk_fma_f32 v[108:109], v[26:27], v[6:7], v[8:9] op_sel:[0,0,1] op_sel_hi:[1,0,0]
	v_mov_b32_e32 v6, v3
	v_pk_mul_f32 v[6:7], v[24:25], v[6:7] op_sel_hi:[1,0]
	v_mov_b32_e32 v107, v109
	v_pk_fma_f32 v[8:9], v[24:25], v[2:3], v[6:7] op_sel:[0,0,1] op_sel_hi:[1,1,0] neg_lo:[0,0,1] neg_hi:[0,0,1]
	v_pk_fma_f32 v[24:25], v[24:25], v[2:3], v[6:7] op_sel:[0,0,1] op_sel_hi:[1,0,0]
	s_waitcnt lgkmcnt(0)
	v_pk_mul_f32 v[2:3], v[12:13], v[0:1] op_sel:[0,1]
	v_mov_b32_e32 v33, v53
	v_pk_fma_f32 v[6:7], v[12:13], v[0:1], v[2:3] op_sel:[0,0,1] op_sel_hi:[1,1,0] neg_lo:[0,0,1] neg_hi:[0,0,1]
	v_pk_fma_f32 v[26:27], v[12:13], v[0:1], v[2:3] op_sel:[0,0,1] op_sel_hi:[1,0,0]
	ds_read2_b64 v[0:3], v19 offset0:112 offset1:202
	v_pk_mul_f32 v[12:13], v[10:11], v[20:21] op_sel:[0,1]
	v_lshlrev_b32_sdwa v7, v84, v89 dst_sel:DWORD dst_unused:UNUSED_PAD src0_sel:DWORD src1_sel:BYTE_0
	v_pk_fma_f32 v[42:43], v[10:11], v[20:21], v[12:13] op_sel:[0,0,1] op_sel_hi:[1,1,0] neg_lo:[0,0,1] neg_hi:[0,0,1]
	v_pk_fma_f32 v[60:61], v[10:11], v[20:21], v[12:13] op_sel:[0,0,1] op_sel_hi:[1,0,0]
	v_mov_b32_e32 v10, v23
	s_waitcnt lgkmcnt(0)
	v_pk_mul_f32 v[10:11], v[2:3], v[10:11] op_sel_hi:[1,0]
	v_add3_u32 v5, 0, v5, v7
	v_pk_fma_f32 v[44:45], v[2:3], v[22:23], v[10:11] op_sel:[0,0,1] op_sel_hi:[1,1,0] neg_lo:[0,0,1] neg_hi:[0,0,1]
	v_pk_fma_f32 v[62:63], v[2:3], v[22:23], v[10:11] op_sel:[0,0,1] op_sel_hi:[1,0,0]
	ds_read2_b64 v[20:23], v79 offset0:8 offset1:98
	v_mov_b32_e32 v2, v31
	v_pk_mul_f32 v[2:3], v[0:1], v[2:3] op_sel_hi:[1,0]
	v_mov_b32_e32 v10, v39
	v_pk_fma_f32 v[110:111], v[0:1], v[30:31], v[2:3] op_sel:[0,0,1] op_sel_hi:[1,1,0] neg_lo:[0,0,1] neg_hi:[0,0,1]
	v_pk_fma_f32 v[112:113], v[0:1], v[30:31], v[2:3] op_sel:[0,0,1] op_sel_hi:[1,0,0]
	s_waitcnt lgkmcnt(0)
	v_pk_mul_f32 v[0:1], v[22:23], v[28:29] op_sel:[0,1]
	v_pk_mul_f32 v[12:13], v[20:21], v[10:11] op_sel_hi:[1,0]
	v_pk_fma_f32 v[114:115], v[22:23], v[28:29], v[0:1] op_sel:[0,0,1] op_sel_hi:[1,1,0] neg_lo:[0,0,1] neg_hi:[0,0,1]
	v_pk_fma_f32 v[116:117], v[22:23], v[28:29], v[0:1] op_sel:[0,0,1] op_sel_hi:[1,0,0]
	global_load_dwordx4 v[28:31], v64, s[4:5] offset:232
	ds_read2_b64 v[0:3], v71 offset0:160 offset1:250
	v_pk_fma_f32 v[10:11], v[20:21], v[38:39], v[12:13] op_sel:[0,0,1] op_sel_hi:[1,1,0] neg_lo:[0,0,1] neg_hi:[0,0,1]
	v_pk_fma_f32 v[34:35], v[20:21], v[38:39], v[12:13] op_sel:[0,0,1] op_sel_hi:[1,0,0]
	v_mov_b32_e32 v111, v113
	v_mov_b32_e32 v115, v117
	s_waitcnt lgkmcnt(0)
	v_pk_mul_f32 v[20:21], v[2:3], v[36:37] op_sel:[0,1]
	v_mov_b32_e32 v45, v63
	v_pk_fma_f32 v[12:13], v[2:3], v[36:37], v[20:21] op_sel:[0,0,1] op_sel_hi:[1,1,0] neg_lo:[0,0,1] neg_hi:[0,0,1]
	v_pk_fma_f32 v[36:37], v[2:3], v[36:37], v[20:21] op_sel:[0,0,1] op_sel_hi:[1,0,0]
	ds_read2_b64 v[20:23], v75 offset0:84 offset1:174
	v_pk_mul_f32 v[2:3], v[0:1], v[46:47] op_sel:[0,1]
	v_mov_b32_e32 v43, v61
	v_pk_fma_f32 v[50:51], v[0:1], v[46:47], v[2:3] op_sel:[0,0,1] op_sel_hi:[1,1,0] neg_lo:[0,0,1] neg_hi:[0,0,1]
	v_pk_fma_f32 v[118:119], v[0:1], v[46:47], v[2:3] op_sel:[0,0,1] op_sel_hi:[1,0,0]
	v_mov_b32_e32 v0, v49
	s_waitcnt lgkmcnt(0)
	v_pk_mul_f32 v[0:1], v[22:23], v[0:1] op_sel_hi:[1,0]
	v_mov_b32_e32 v51, v119
	v_pk_fma_f32 v[54:55], v[22:23], v[48:49], v[0:1] op_sel:[0,0,1] op_sel_hi:[1,1,0] neg_lo:[0,0,1] neg_hi:[0,0,1]
	v_pk_fma_f32 v[120:121], v[22:23], v[48:49], v[0:1] op_sel:[0,0,1] op_sel_hi:[1,0,0]
	ds_read2_b64 v[0:3], v69 offset0:108 offset1:198
	ds_read2_b64 v[46:49], v80 offset0:132 offset1:222
	v_pk_mul_f32 v[22:23], v[20:21], v[14:15] op_sel_hi:[1,0]
	s_waitcnt vmcnt(3)
	v_mov_b32_e32 v14, v97
	v_pk_fma_f32 v[122:123], v[20:21], v[58:59], v[22:23] op_sel:[0,0,1] op_sel_hi:[1,1,0] neg_lo:[0,0,1] neg_hi:[0,0,1]
	v_pk_fma_f32 v[124:125], v[20:21], v[58:59], v[22:23] op_sel:[0,0,1] op_sel_hi:[1,0,0]
	s_waitcnt lgkmcnt(1)
	v_pk_mul_f32 v[20:21], v[2:3], v[56:57] op_sel:[0,1]
	v_mov_b32_e32 v123, v125
	v_pk_fma_f32 v[126:127], v[2:3], v[56:57], v[20:21] op_sel:[0,0,1] op_sel_hi:[1,1,0] neg_lo:[0,0,1] neg_hi:[0,0,1]
	v_pk_fma_f32 v[128:129], v[2:3], v[56:57], v[20:21] op_sel:[0,0,1] op_sel_hi:[1,0,0]
	v_mov_b32_e32 v2, v93
	v_pk_mul_f32 v[2:3], v[0:1], v[2:3] op_sel_hi:[1,0]
	v_mov_b32_e32 v127, v129
	v_pk_fma_f32 v[22:23], v[0:1], v[92:93], v[2:3] op_sel:[0,0,1] op_sel_hi:[1,1,0] neg_lo:[0,0,1] neg_hi:[0,0,1]
	v_pk_fma_f32 v[38:39], v[0:1], v[92:93], v[2:3] op_sel:[0,0,1] op_sel_hi:[1,0,0]
	s_waitcnt lgkmcnt(0)
	v_pk_mul_f32 v[0:1], v[48:49], v[90:91] op_sel:[0,1]
	v_mov_b32_e32 v55, v121
	v_pk_fma_f32 v[20:21], v[48:49], v[90:91], v[0:1] op_sel:[0,0,1] op_sel_hi:[1,1,0] neg_lo:[0,0,1] neg_hi:[0,0,1]
	v_pk_fma_f32 v[40:41], v[48:49], v[90:91], v[0:1] op_sel:[0,0,1] op_sel_hi:[1,0,0]
	global_load_dwordx4 v[90:93], v64, s[4:5] offset:216
	ds_read2_b64 v[0:3], v78 offset0:56 offset1:146
	v_pk_mul_f32 v[48:49], v[46:47], v[94:95] op_sel:[0,1]
	v_pk_add_f32 v[52:53], v[44:45], v[54:55] neg_lo:[0,1] neg_hi:[0,1]
	v_pk_fma_f32 v[56:57], v[46:47], v[94:95], v[48:49] op_sel:[0,0,1] op_sel_hi:[1,1,0] neg_lo:[0,0,1] neg_hi:[0,0,1]
	v_pk_fma_f32 v[94:95], v[46:47], v[94:95], v[48:49] op_sel:[0,0,1] op_sel_hi:[1,0,0]
	s_waitcnt lgkmcnt(0)
	v_pk_mul_f32 v[46:47], v[2:3], v[14:15] op_sel_hi:[1,0]
	s_waitcnt vmcnt(3)
	v_mov_b32_e32 v14, v101
	v_pk_fma_f32 v[58:59], v[2:3], v[96:97], v[46:47] op_sel:[0,0,1] op_sel_hi:[1,1,0] neg_lo:[0,0,1] neg_hi:[0,0,1]
	v_pk_fma_f32 v[96:97], v[2:3], v[96:97], v[46:47] op_sel:[0,0,1] op_sel_hi:[1,0,0]
	v_mov_b32_e32 v57, v95
	v_mov_b32_e32 v59, v97
	v_pk_add_f32 v[94:95], v[32:33], v[42:43] neg_lo:[0,1] neg_hi:[0,1]
	v_pk_add_f32 v[96:97], v[56:57], v[32:33] neg_lo:[0,1] neg_hi:[0,1]
	v_mul_u32_u24_e32 v7, 0x960, v86
	v_mov_b32_e32 v9, v25
	v_mov_b32_e32 v23, v39
	;; [unrolled: 1-line block ×4, first 2 shown]
	v_pk_add_f32 v[36:37], v[8:9], v[10:11] neg_lo:[0,1] neg_hi:[0,1]
	v_mov_b32_e32 v21, v41
	s_waitcnt vmcnt(1)
	v_mov_b32_e32 v2, v31
	v_pk_mul_f32 v[2:3], v[0:1], v[2:3] op_sel_hi:[1,0]
	s_nop 0
	v_pk_fma_f32 v[130:131], v[0:1], v[30:31], v[2:3] op_sel:[0,0,1] op_sel_hi:[1,1,0] neg_lo:[0,0,1] neg_hi:[0,0,1]
	v_pk_fma_f32 v[132:133], v[0:1], v[30:31], v[2:3] op_sel:[0,0,1] op_sel_hi:[1,0,0]
	ds_read2_b64 v[0:3], v77 offset0:80 offset1:170
	v_mov_b32_e32 v131, v133
	v_pk_add_f32 v[108:109], v[130:131], v[122:123]
	v_pk_add_f32 v[132:133], v[106:107], v[114:115] neg_lo:[0,1] neg_hi:[0,1]
	s_waitcnt lgkmcnt(0)
	v_pk_mul_f32 v[30:31], v[28:29], v[2:3] op_sel:[0,1]
	s_nop 0
	v_pk_fma_f32 v[134:135], v[28:29], v[2:3], v[30:31] op_sel:[0,0,1] op_sel_hi:[1,1,0] neg_lo:[0,0,1] neg_hi:[0,0,1]
	v_pk_fma_f32 v[136:137], v[28:29], v[2:3], v[30:31] op_sel:[0,0,1] op_sel_hi:[1,0,0]
	v_mov_b32_e32 v2, v105
	v_pk_mul_f32 v[2:3], v[0:1], v[2:3] op_sel_hi:[1,0]
	v_mov_b32_e32 v135, v137
	v_pk_fma_f32 v[28:29], v[0:1], v[104:105], v[2:3] op_sel:[0,0,1] op_sel_hi:[1,1,0] neg_lo:[0,0,1] neg_hi:[0,0,1]
	v_pk_fma_f32 v[46:47], v[0:1], v[104:105], v[2:3] op_sel:[0,0,1] op_sel_hi:[1,0,0]
	ds_read2_b64 v[0:3], v74 offset0:104 offset1:194
	v_pk_add_f32 v[136:137], v[134:135], v[106:107] neg_lo:[0,1] neg_hi:[0,1]
	v_mov_b32_e32 v29, v47
	v_pk_add_f32 v[34:35], v[28:29], v[22:23] neg_lo:[0,1] neg_hi:[0,1]
	s_waitcnt lgkmcnt(0)
	v_pk_mul_f32 v[48:49], v[2:3], v[102:103] op_sel:[0,1]
	s_nop 0
	v_pk_fma_f32 v[30:31], v[2:3], v[102:103], v[48:49] op_sel:[0,0,1] op_sel_hi:[1,1,0] neg_lo:[0,0,1] neg_hi:[0,0,1]
	v_pk_fma_f32 v[48:49], v[2:3], v[102:103], v[48:49] op_sel:[0,0,1] op_sel_hi:[1,0,0]
	v_pk_mul_f32 v[2:3], v[0:1], v[98:99] op_sel:[0,1]
	v_pk_add_f32 v[34:35], v[34:35], v[36:37]
	v_pk_fma_f32 v[64:65], v[0:1], v[98:99], v[2:3] op_sel:[0,0,1] op_sel_hi:[1,1,0] neg_lo:[0,0,1] neg_hi:[0,0,1]
	v_pk_fma_f32 v[98:99], v[0:1], v[98:99], v[2:3] op_sel:[0,0,1] op_sel_hi:[1,0,0]
	ds_read2_b64 v[0:3], v72 offset0:28 offset1:118
	v_mov_b32_e32 v65, v99
	v_pk_mul_f32 v[98:99], v[96:97], s[6:7] op_sel_hi:[1,0]
	v_mov_b32_e32 v31, v49
	s_waitcnt lgkmcnt(0)
	v_pk_mul_f32 v[102:103], v[2:3], v[14:15] op_sel_hi:[1,0]
	s_nop 0
	v_pk_fma_f32 v[104:105], v[2:3], v[100:101], v[102:103] op_sel:[0,0,1] op_sel_hi:[1,1,0] neg_lo:[0,0,1] neg_hi:[0,0,1]
	v_pk_fma_f32 v[100:101], v[2:3], v[100:101], v[102:103] op_sel:[0,0,1] op_sel_hi:[1,0,0]
	s_waitcnt vmcnt(0)
	v_pk_mul_f32 v[2:3], v[92:93], v[0:1] op_sel:[0,1]
	s_nop 0
	v_pk_fma_f32 v[102:103], v[92:93], v[0:1], v[2:3] op_sel:[0,0,1] op_sel_hi:[1,1,0] neg_lo:[0,0,1] neg_hi:[0,0,1]
	v_pk_fma_f32 v[92:93], v[92:93], v[0:1], v[2:3] op_sel:[0,0,1] op_sel_hi:[1,0,0]
	ds_read2_b64 v[0:3], v81 offset0:52 offset1:142
	v_mov_b32_e32 v103, v93
	v_pk_add_f32 v[112:113], v[102:103], v[110:111] neg_lo:[0,1] neg_hi:[0,1]
	v_mov_b32_e32 v105, v101
	v_pk_mul_f32 v[116:117], v[112:113], s[6:7] op_sel_hi:[1,0]
	s_waitcnt lgkmcnt(0)
	v_pk_mul_f32 v[138:139], v[90:91], v[2:3] op_sel:[0,1]
	v_pk_add_f32 v[60:61], v[104:105], v[44:45] neg_lo:[0,1] neg_hi:[0,1]
	v_pk_fma_f32 v[140:141], v[90:91], v[2:3], v[138:139] op_sel:[0,0,1] op_sel_hi:[1,1,0] neg_lo:[0,0,1] neg_hi:[0,0,1]
	v_pk_fma_f32 v[2:3], v[90:91], v[2:3], v[138:139] op_sel:[0,0,1] op_sel_hi:[1,0,0]
	v_pk_add_f32 v[90:91], v[110:111], v[122:123] neg_lo:[0,1] neg_hi:[0,1]
	v_mov_b32_e32 v141, v3
	v_pk_add_f32 v[2:3], v[102:103], v[130:131] neg_lo:[0,1] neg_hi:[0,1]
	v_pk_mul_f32 v[138:139], v[136:137], s[6:7] op_sel_hi:[1,0]
	v_pk_add_f32 v[2:3], v[2:3], v[90:91]
	ds_read2_b64 v[90:93], v68 offset1:90
	s_waitcnt lgkmcnt(0)
	s_barrier
	v_pk_mul_f32 v[62:63], v[60:61], s[6:7] op_sel_hi:[1,0]
	v_pk_fma_f32 v[108:109], v[108:109], 0.5, v[90:91] op_sel_hi:[1,0,1] neg_lo:[1,0,0] neg_hi:[1,0,0]
	v_pk_add_f32 v[88:89], v[90:91], v[102:103]
	v_pk_add_f32 v[124:125], v[108:109], v[116:117] op_sel:[0,1] op_sel_hi:[1,0]
	v_pk_add_f32 v[108:109], v[108:109], v[116:117] op_sel:[0,1] op_sel_hi:[1,0] neg_lo:[0,1] neg_hi:[0,1]
	v_pk_add_f32 v[116:117], v[130:131], v[122:123] neg_lo:[0,1] neg_hi:[0,1]
	v_pk_add_f32 v[88:89], v[88:89], v[130:131]
	v_pk_mul_f32 v[128:129], v[116:117], s[10:11] op_sel_hi:[1,0]
	v_pk_add_f32 v[88:89], v[88:89], v[122:123]
	v_pk_add_f32 v[108:109], v[108:109], v[128:129] op_sel:[0,1] op_sel_hi:[1,0] neg_lo:[0,1] neg_hi:[0,1]
	v_pk_add_f32 v[124:125], v[124:125], v[128:129] op_sel:[0,1] op_sel_hi:[1,0]
	v_pk_add_f32 v[128:129], v[134:135], v[126:127] neg_lo:[0,1] neg_hi:[0,1]
	v_pk_add_f32 v[130:131], v[130:131], v[102:103] neg_lo:[0,1] neg_hi:[0,1]
	v_pk_add_f32 v[128:129], v[128:129], v[132:133]
	v_pk_add_f32 v[132:133], v[126:127], v[114:115]
	;; [unrolled: 1-line block ×3, first 2 shown]
	v_pk_fma_f32 v[132:133], v[132:133], 0.5, v[140:141] op_sel_hi:[1,0,1] neg_lo:[1,0,0] neg_hi:[1,0,0]
	v_pk_add_f32 v[88:89], v[88:89], v[110:111]
	v_pk_add_f32 v[142:143], v[132:133], v[138:139] op_sel:[0,1] op_sel_hi:[1,0]
	v_pk_add_f32 v[132:133], v[132:133], v[138:139] op_sel:[0,1] op_sel_hi:[1,0] neg_lo:[0,1] neg_hi:[0,1]
	v_pk_add_f32 v[138:139], v[126:127], v[114:115] neg_lo:[0,1] neg_hi:[0,1]
	v_pk_add_f32 v[110:111], v[122:123], v[110:111] neg_lo:[0,1] neg_hi:[0,1]
	v_pk_mul_f32 v[144:145], v[138:139], s[10:11] op_sel_hi:[1,0]
	v_pk_add_f32 v[122:123], v[134:135], v[106:107]
	v_pk_add_f32 v[132:133], v[132:133], v[144:145] op_sel:[0,1] op_sel_hi:[1,0] neg_lo:[0,1] neg_hi:[0,1]
	v_pk_add_f32 v[142:143], v[142:143], v[144:145] op_sel:[0,1] op_sel_hi:[1,0]
	v_mov_b32_e32 v145, v133
	v_mov_b32_e32 v144, v142
	v_pk_fma_f32 v[144:145], v[128:129], s[8:9], v[144:145] op_sel_hi:[1,0,1]
	v_pk_fma_f32 v[90:91], v[102:103], 0.5, v[90:91] op_sel_hi:[1,0,1] neg_lo:[1,0,0] neg_hi:[1,0,0]
	v_pk_mul_f32 v[146:147], v[144:145], s[10:11] op_sel_hi:[1,0]
	v_pk_mul_f32 v[102:103], v[116:117], s[6:7] op_sel_hi:[1,0]
	v_pk_fma_f32 v[148:149], v[144:145], s[12:13], v[146:147] op_sel:[0,0,1] op_sel_hi:[1,0,0]
	v_pk_fma_f32 v[144:145], v[144:145], s[12:13], v[146:147] op_sel:[0,0,1] op_sel_hi:[1,0,0] neg_lo:[0,0,1] neg_hi:[0,0,1]
	v_pk_fma_f32 v[122:123], v[122:123], 0.5, v[140:141] op_sel_hi:[1,0,1] neg_lo:[1,0,0] neg_hi:[1,0,0]
	v_mov_b32_e32 v149, v145
	v_pk_add_f32 v[144:145], v[140:141], v[134:135]
	v_pk_mul_f32 v[116:117], v[136:137], s[10:11] op_sel_hi:[1,0]
	v_pk_add_f32 v[144:145], v[144:145], v[126:127]
	v_pk_add_f32 v[126:127], v[126:127], v[134:135] neg_lo:[0,1] neg_hi:[0,1]
	v_pk_add_f32 v[144:145], v[144:145], v[114:115]
	v_pk_add_f32 v[110:111], v[130:131], v[110:111]
	;; [unrolled: 1-line block ×3, first 2 shown]
	v_pk_add_f32 v[106:107], v[114:115], v[106:107] neg_lo:[0,1] neg_hi:[0,1]
	v_pk_add_f32 v[114:115], v[90:91], v[102:103] op_sel:[0,1] op_sel_hi:[1,0] neg_lo:[0,1] neg_hi:[0,1]
	v_pk_add_f32 v[90:91], v[90:91], v[102:103] op_sel:[0,1] op_sel_hi:[1,0]
	v_pk_mul_f32 v[102:103], v[112:113], s[10:11] op_sel_hi:[1,0]
	v_pk_mul_f32 v[112:113], v[138:139], s[6:7] op_sel_hi:[1,0]
	v_pk_add_f32 v[90:91], v[90:91], v[102:103] op_sel:[0,1] op_sel_hi:[1,0] neg_lo:[0,1] neg_hi:[0,1]
	v_pk_add_f32 v[102:103], v[114:115], v[102:103] op_sel:[0,1] op_sel_hi:[1,0]
	v_pk_add_f32 v[114:115], v[122:123], v[112:113] op_sel:[0,1] op_sel_hi:[1,0] neg_lo:[0,1] neg_hi:[0,1]
	v_pk_add_f32 v[112:113], v[122:123], v[112:113] op_sel:[0,1] op_sel_hi:[1,0]
	v_pk_add_f32 v[114:115], v[114:115], v[116:117] op_sel:[0,1] op_sel_hi:[1,0]
	v_pk_add_f32 v[112:113], v[112:113], v[116:117] op_sel:[0,1] op_sel_hi:[1,0] neg_lo:[0,1] neg_hi:[0,1]
	v_pk_add_f32 v[106:107], v[126:127], v[106:107]
	v_mov_b32_e32 v116, v114
	v_mov_b32_e32 v117, v113
	v_pk_fma_f32 v[116:117], v[106:107], s[8:9], v[116:117] op_sel_hi:[1,0,1]
	v_mov_b32_e32 v113, v115
	v_pk_mul_f32 v[122:123], v[116:117], s[6:7] op_sel_hi:[1,0]
	v_pk_fma_f32 v[106:107], v[106:107], s[8:9], v[112:113] op_sel_hi:[1,0,1]
	v_pk_fma_f32 v[126:127], v[116:117], s[8:9], v[122:123] op_sel:[0,0,1] op_sel_hi:[1,0,0]
	v_pk_fma_f32 v[116:117], v[116:117], s[8:9], v[122:123] op_sel:[0,0,1] op_sel_hi:[1,0,0] neg_lo:[0,0,1] neg_hi:[0,0,1]
	v_mov_b32_e32 v146, v124
	v_mov_b32_e32 v127, v117
	;; [unrolled: 1-line block ×5, first 2 shown]
	v_pk_fma_f32 v[102:103], v[110:111], s[8:9], v[116:117] op_sel_hi:[1,0,1]
	v_pk_fma_f32 v[90:91], v[110:111], s[8:9], v[90:91] op_sel_hi:[1,0,1]
	v_pk_mul_f32 v[110:111], v[106:107], s[8:9] op_sel_hi:[1,0]
	v_mov_b32_e32 v147, v109
	v_pk_fma_f32 v[106:107], v[106:107], s[14:15], v[110:111] op_sel:[0,0,1] op_sel_hi:[1,1,0] neg_lo:[0,0,1] neg_hi:[0,0,1]
	v_mov_b32_e32 v109, v125
	v_mov_b32_e32 v133, v143
	v_pk_fma_f32 v[146:147], v[2:3], s[8:9], v[146:147] op_sel_hi:[1,0,1]
	v_pk_add_f32 v[110:111], v[102:103], v[126:127]
	v_pk_add_f32 v[112:113], v[90:91], v[106:107] op_sel:[0,1] op_sel_hi:[1,0]
	v_pk_fma_f32 v[2:3], v[2:3], s[8:9], v[108:109] op_sel_hi:[1,0,1]
	v_pk_fma_f32 v[108:109], v[128:129], s[8:9], v[132:133] op_sel_hi:[1,0,1]
	ds_write2_b64 v5, v[110:111], v[112:113] offset0:60 offset1:90
	v_pk_mul_f32 v[110:111], v[108:109], s[12:13] op_sel_hi:[1,0]
	v_pk_add_f32 v[150:151], v[88:89], v[144:145]
	v_pk_fma_f32 v[108:109], v[108:109], s[16:17], v[110:111] op_sel:[0,0,1] op_sel_hi:[1,1,0] neg_lo:[0,0,1] neg_hi:[0,0,1]
	v_pk_add_f32 v[88:89], v[88:89], v[144:145] neg_lo:[0,1] neg_hi:[0,1]
	v_pk_add_f32 v[110:111], v[2:3], v[108:109] op_sel:[0,1] op_sel_hi:[1,0]
	v_pk_add_f32 v[152:153], v[146:147], v[148:149]
	ds_write2_b64 v5, v[110:111], v[88:89] offset0:120 offset1:150
	v_pk_add_f32 v[88:89], v[146:147], v[148:149] neg_lo:[0,1] neg_hi:[0,1]
	v_pk_add_f32 v[102:103], v[102:103], v[126:127] neg_lo:[0,1] neg_hi:[0,1]
	ds_write2_b64 v5, v[150:151], v[152:153] offset1:30
	ds_write2_b64 v5, v[88:89], v[102:103] offset0:180 offset1:210
	v_pk_add_f32 v[88:89], v[90:91], v[106:107] op_sel:[0,1] op_sel_hi:[1,0] neg_lo:[0,1] neg_hi:[0,1]
	v_pk_add_f32 v[2:3], v[2:3], v[108:109] op_sel:[0,1] op_sel_hi:[1,0] neg_lo:[0,1] neg_hi:[0,1]
	v_add_u32_e32 v5, 0x400, v5
	ds_write2_b64 v5, v[88:89], v[2:3] offset0:112 offset1:142
	v_pk_add_f32 v[2:3], v[104:105], v[58:59] neg_lo:[0,1] neg_hi:[0,1]
	v_lshlrev_b32_sdwa v5, v84, v87 dst_sel:DWORD dst_unused:UNUSED_PAD src0_sel:DWORD src1_sel:BYTE_0
	v_pk_add_f32 v[2:3], v[2:3], v[52:53]
	v_pk_add_f32 v[52:53], v[58:59], v[54:55]
	;; [unrolled: 1-line block ×3, first 2 shown]
	v_pk_fma_f32 v[52:53], v[52:53], 0.5, v[92:93] op_sel_hi:[1,0,1] neg_lo:[1,0,0] neg_hi:[1,0,0]
	v_pk_add_f32 v[86:87], v[64:65], v[56:57]
	v_pk_add_f32 v[88:89], v[52:53], v[62:63] op_sel:[0,1] op_sel_hi:[1,0]
	v_pk_add_f32 v[52:53], v[52:53], v[62:63] op_sel:[0,1] op_sel_hi:[1,0] neg_lo:[0,1] neg_hi:[0,1]
	v_pk_add_f32 v[62:63], v[58:59], v[54:55] neg_lo:[0,1] neg_hi:[0,1]
	v_pk_add_f32 v[84:85], v[84:85], v[58:59]
	v_pk_mul_f32 v[90:91], v[62:63], s[10:11] op_sel_hi:[1,0]
	v_pk_add_f32 v[86:87], v[86:87], v[50:51]
	v_pk_add_f32 v[52:53], v[52:53], v[90:91] op_sel:[0,1] op_sel_hi:[1,0] neg_lo:[0,1] neg_hi:[0,1]
	v_pk_add_f32 v[88:89], v[88:89], v[90:91] op_sel:[0,1] op_sel_hi:[1,0]
	v_pk_add_f32 v[90:91], v[56:57], v[50:51] neg_lo:[0,1] neg_hi:[0,1]
	v_pk_add_f32 v[84:85], v[84:85], v[54:55]
	v_pk_add_f32 v[90:91], v[90:91], v[94:95]
	;; [unrolled: 1-line block ×4, first 2 shown]
	v_pk_fma_f32 v[94:95], v[94:95], 0.5, v[64:65] op_sel_hi:[1,0,1] neg_lo:[1,0,0] neg_hi:[1,0,0]
	v_pk_add_f32 v[84:85], v[84:85], v[44:45]
	v_pk_add_f32 v[100:101], v[94:95], v[98:99] op_sel:[0,1] op_sel_hi:[1,0]
	v_pk_add_f32 v[94:95], v[94:95], v[98:99] op_sel:[0,1] op_sel_hi:[1,0] neg_lo:[0,1] neg_hi:[0,1]
	v_pk_add_f32 v[98:99], v[50:51], v[42:43] neg_lo:[0,1] neg_hi:[0,1]
	v_pk_add_f32 v[86:87], v[86:87], v[32:33]
	v_pk_mul_f32 v[102:103], v[98:99], s[10:11] op_sel_hi:[1,0]
	v_add3_u32 v26, 0, v7, v5
	v_pk_add_f32 v[94:95], v[94:95], v[102:103] op_sel:[0,1] op_sel_hi:[1,0] neg_lo:[0,1] neg_hi:[0,1]
	v_pk_add_f32 v[100:101], v[100:101], v[102:103] op_sel:[0,1] op_sel_hi:[1,0]
	v_mov_b32_e32 v103, v95
	v_mov_b32_e32 v102, v100
	v_pk_fma_f32 v[102:103], v[90:91], s[8:9], v[102:103] op_sel_hi:[1,0,1]
	v_pk_add_f32 v[50:51], v[50:51], v[56:57] neg_lo:[0,1] neg_hi:[0,1]
	v_pk_mul_f32 v[106:107], v[102:103], s[10:11] op_sel_hi:[1,0]
	v_pk_add_f32 v[58:59], v[58:59], v[104:105] neg_lo:[0,1] neg_hi:[0,1]
	v_pk_fma_f32 v[108:109], v[102:103], s[12:13], v[106:107] op_sel:[0,0,1] op_sel_hi:[1,0,0]
	v_pk_fma_f32 v[102:103], v[102:103], s[12:13], v[106:107] op_sel:[0,0,1] op_sel_hi:[1,0,0] neg_lo:[0,0,1] neg_hi:[0,0,1]
	v_pk_add_f32 v[106:107], v[84:85], v[86:87]
	v_mov_b32_e32 v109, v103
	v_mov_b32_e32 v102, v88
	;; [unrolled: 1-line block ×3, first 2 shown]
	v_pk_fma_f32 v[102:103], v[2:3], s[8:9], v[102:103] op_sel_hi:[1,0,1]
	v_mov_b32_e32 v95, v101
	v_pk_add_f32 v[110:111], v[102:103], v[108:109]
	ds_write2_b64 v26, v[106:107], v[110:111] offset1:30
	v_pk_add_f32 v[106:107], v[104:105], v[44:45]
	v_pk_add_f32 v[44:45], v[54:55], v[44:45] neg_lo:[0,1] neg_hi:[0,1]
	v_pk_fma_f32 v[92:93], v[106:107], 0.5, v[92:93] op_sel_hi:[1,0,1] neg_lo:[1,0,0] neg_hi:[1,0,0]
	v_pk_add_f32 v[54:55], v[56:57], v[32:33]
	v_pk_add_f32 v[32:33], v[42:43], v[32:33] neg_lo:[0,1] neg_hi:[0,1]
	v_pk_mul_f32 v[42:43], v[62:63], s[6:7] op_sel_hi:[1,0]
	v_pk_add_f32 v[32:33], v[50:51], v[32:33]
	v_pk_add_f32 v[50:51], v[92:93], v[42:43] op_sel:[0,1] op_sel_hi:[1,0] neg_lo:[0,1] neg_hi:[0,1]
	v_pk_add_f32 v[42:43], v[92:93], v[42:43] op_sel:[0,1] op_sel_hi:[1,0]
	v_pk_mul_f32 v[56:57], v[60:61], s[10:11] op_sel_hi:[1,0]
	v_pk_fma_f32 v[54:55], v[54:55], 0.5, v[64:65] op_sel_hi:[1,0,1] neg_lo:[1,0,0] neg_hi:[1,0,0]
	v_pk_add_f32 v[42:43], v[42:43], v[56:57] op_sel:[0,1] op_sel_hi:[1,0] neg_lo:[0,1] neg_hi:[0,1]
	v_pk_add_f32 v[50:51], v[50:51], v[56:57] op_sel:[0,1] op_sel_hi:[1,0]
	v_pk_mul_f32 v[56:57], v[98:99], s[6:7] op_sel_hi:[1,0]
	v_pk_add_f32 v[44:45], v[58:59], v[44:45]
	v_pk_add_f32 v[58:59], v[54:55], v[56:57] op_sel:[0,1] op_sel_hi:[1,0] neg_lo:[0,1] neg_hi:[0,1]
	v_pk_add_f32 v[54:55], v[54:55], v[56:57] op_sel:[0,1] op_sel_hi:[1,0]
	v_pk_mul_f32 v[56:57], v[96:97], s[10:11] op_sel_hi:[1,0]
	v_mov_b32_e32 v53, v89
	v_pk_add_f32 v[54:55], v[54:55], v[56:57] op_sel:[0,1] op_sel_hi:[1,0] neg_lo:[0,1] neg_hi:[0,1]
	v_pk_add_f32 v[56:57], v[58:59], v[56:57] op_sel:[0,1] op_sel_hi:[1,0]
	v_mov_b32_e32 v59, v55
	v_mov_b32_e32 v58, v56
	v_pk_fma_f32 v[58:59], v[32:33], s[8:9], v[58:59] op_sel_hi:[1,0,1]
	v_mov_b32_e32 v55, v57
	v_pk_mul_f32 v[60:61], v[58:59], s[6:7] op_sel_hi:[1,0]
	v_pk_fma_f32 v[32:33], v[32:33], s[8:9], v[54:55] op_sel_hi:[1,0,1]
	v_pk_fma_f32 v[62:63], v[58:59], s[8:9], v[60:61] op_sel:[0,0,1] op_sel_hi:[1,0,0]
	v_pk_fma_f32 v[58:59], v[58:59], s[8:9], v[60:61] op_sel:[0,0,1] op_sel_hi:[1,0,0] neg_lo:[0,0,1] neg_hi:[0,0,1]
	v_pk_fma_f32 v[2:3], v[2:3], s[8:9], v[52:53] op_sel_hi:[1,0,1]
	v_mov_b32_e32 v63, v59
	v_mov_b32_e32 v58, v50
	;; [unrolled: 1-line block ×4, first 2 shown]
	v_pk_fma_f32 v[50:51], v[44:45], s[8:9], v[58:59] op_sel_hi:[1,0,1]
	v_pk_fma_f32 v[42:43], v[44:45], s[8:9], v[42:43] op_sel_hi:[1,0,1]
	v_pk_mul_f32 v[44:45], v[32:33], s[8:9] op_sel_hi:[1,0]
	v_mov_b32_e32 v5, v15
	v_pk_fma_f32 v[32:33], v[32:33], s[14:15], v[44:45] op_sel:[0,0,1] op_sel_hi:[1,1,0] neg_lo:[0,0,1] neg_hi:[0,0,1]
	v_pk_add_f32 v[44:45], v[50:51], v[62:63]
	v_pk_add_f32 v[54:55], v[42:43], v[32:33] op_sel:[0,1] op_sel_hi:[1,0]
	ds_write2_b64 v26, v[44:45], v[54:55] offset0:60 offset1:90
	v_pk_fma_f32 v[44:45], v[90:91], s[8:9], v[94:95] op_sel_hi:[1,0,1]
	v_pk_add_f32 v[14:15], v[102:103], v[108:109] neg_lo:[0,1] neg_hi:[0,1]
	v_pk_mul_f32 v[52:53], v[44:45], s[12:13] op_sel_hi:[1,0]
	v_pk_add_f32 v[24:25], v[50:51], v[62:63] neg_lo:[0,1] neg_hi:[0,1]
	v_pk_fma_f32 v[44:45], v[44:45], s[16:17], v[52:53] op_sel:[0,0,1] op_sel_hi:[1,1,0] neg_lo:[0,0,1] neg_hi:[0,0,1]
	ds_write2_b64 v26, v[14:15], v[24:25] offset0:180 offset1:210
	v_pk_add_f32 v[54:55], v[2:3], v[44:45] op_sel:[0,1] op_sel_hi:[1,0]
	v_pk_add_f32 v[14:15], v[42:43], v[32:33] op_sel:[0,1] op_sel_hi:[1,0] neg_lo:[0,1] neg_hi:[0,1]
	v_pk_add_f32 v[2:3], v[2:3], v[44:45] op_sel:[0,1] op_sel_hi:[1,0] neg_lo:[0,1] neg_hi:[0,1]
	v_add_u32_e32 v24, 0x400, v26
	v_pk_add_f32 v[52:53], v[84:85], v[86:87] neg_lo:[0,1] neg_hi:[0,1]
	ds_write2_b64 v24, v[14:15], v[2:3] offset0:112 offset1:142
	v_pk_add_f32 v[2:3], v[22:23], v[10:11]
	v_pk_add_f32 v[14:15], v[28:29], v[8:9] neg_lo:[0,1] neg_hi:[0,1]
	ds_write2_b64 v26, v[54:55], v[52:53] offset0:120 offset1:150
	v_mov_b32_e32 v7, v27
	v_pk_fma_f32 v[2:3], v[2:3], 0.5, v[0:1] op_sel_hi:[1,0,1] neg_lo:[1,0,0] neg_hi:[1,0,0]
	v_pk_mul_f32 v[24:25], v[14:15], s[6:7] op_sel_hi:[1,0]
	v_pk_add_f32 v[26:27], v[22:23], v[10:11] neg_lo:[0,1] neg_hi:[0,1]
	v_pk_add_f32 v[36:37], v[2:3], v[24:25] op_sel:[0,1] op_sel_hi:[1,0]
	v_pk_mul_f32 v[32:33], v[26:27], s[10:11] op_sel_hi:[1,0]
	v_pk_add_f32 v[2:3], v[2:3], v[24:25] op_sel:[0,1] op_sel_hi:[1,0] neg_lo:[0,1] neg_hi:[0,1]
	v_pk_add_f32 v[24:25], v[36:37], v[32:33] op_sel:[0,1] op_sel_hi:[1,0]
	v_pk_add_f32 v[36:37], v[20:21], v[12:13] neg_lo:[0,1] neg_hi:[0,1]
	v_pk_add_f32 v[38:39], v[4:5], v[6:7] neg_lo:[0,1] neg_hi:[0,1]
	v_pk_add_f32 v[2:3], v[2:3], v[32:33] op_sel:[0,1] op_sel_hi:[1,0] neg_lo:[0,1] neg_hi:[0,1]
	v_pk_add_f32 v[32:33], v[12:13], v[6:7]
	v_pk_add_f32 v[36:37], v[36:37], v[38:39]
	v_pk_add_f32 v[38:39], v[20:21], v[4:5] neg_lo:[0,1] neg_hi:[0,1]
	v_pk_fma_f32 v[32:33], v[32:33], 0.5, v[30:31] op_sel_hi:[1,0,1] neg_lo:[1,0,0] neg_hi:[1,0,0]
	v_pk_mul_f32 v[40:41], v[38:39], s[6:7] op_sel_hi:[1,0]
	v_mov_b32_e32 v50, v24
	v_pk_add_f32 v[42:43], v[32:33], v[40:41] op_sel:[0,1] op_sel_hi:[1,0]
	v_pk_add_f32 v[32:33], v[32:33], v[40:41] op_sel:[0,1] op_sel_hi:[1,0] neg_lo:[0,1] neg_hi:[0,1]
	v_pk_add_f32 v[40:41], v[12:13], v[6:7] neg_lo:[0,1] neg_hi:[0,1]
	v_mov_b32_e32 v51, v3
	v_pk_mul_f32 v[44:45], v[40:41], s[10:11] op_sel_hi:[1,0]
	v_pk_fma_f32 v[50:51], v[34:35], s[8:9], v[50:51] op_sel_hi:[1,0,1]
	v_pk_add_f32 v[32:33], v[32:33], v[44:45] op_sel:[0,1] op_sel_hi:[1,0] neg_lo:[0,1] neg_hi:[0,1]
	v_pk_add_f32 v[42:43], v[42:43], v[44:45] op_sel:[0,1] op_sel_hi:[1,0]
	v_mov_b32_e32 v45, v33
	v_mov_b32_e32 v44, v42
	v_pk_fma_f32 v[44:45], v[36:37], s[8:9], v[44:45] op_sel_hi:[1,0,1]
	v_mul_u32_u24_e32 v33, 0x960, v66
	v_pk_mul_f32 v[46:47], v[44:45], s[10:11] op_sel_hi:[1,0]
	v_lshlrev_b32_e32 v42, 3, v67
	v_pk_fma_f32 v[48:49], v[44:45], s[12:13], v[46:47] op_sel:[0,0,1] op_sel_hi:[1,0,0]
	v_pk_fma_f32 v[44:45], v[44:45], s[12:13], v[46:47] op_sel:[0,0,1] op_sel_hi:[1,0,0] neg_lo:[0,0,1] neg_hi:[0,0,1]
	v_pk_add_f32 v[46:47], v[30:31], v[20:21]
	v_mov_b32_e32 v49, v45
	v_pk_add_f32 v[44:45], v[0:1], v[28:29]
	v_pk_add_f32 v[46:47], v[46:47], v[12:13]
	;; [unrolled: 1-line block ×7, first 2 shown]
	v_add3_u32 v42, 0, v33, v42
	v_pk_add_f32 v[52:53], v[44:45], v[46:47]
	v_pk_add_f32 v[54:55], v[50:51], v[48:49]
	ds_write2_b64 v42, v[52:53], v[54:55] offset1:30
	v_pk_add_f32 v[52:53], v[28:29], v[8:9]
	v_pk_add_f32 v[8:9], v[10:11], v[8:9] neg_lo:[0,1] neg_hi:[0,1]
	v_pk_fma_f32 v[0:1], v[52:53], 0.5, v[0:1] op_sel_hi:[1,0,1] neg_lo:[1,0,0] neg_hi:[1,0,0]
	v_pk_add_f32 v[10:11], v[20:21], v[4:5]
	v_pk_add_f32 v[12:13], v[12:13], v[20:21] neg_lo:[0,1] neg_hi:[0,1]
	v_pk_add_f32 v[4:5], v[6:7], v[4:5] neg_lo:[0,1] neg_hi:[0,1]
	v_pk_mul_f32 v[6:7], v[26:27], s[6:7] op_sel_hi:[1,0]
	v_pk_add_f32 v[4:5], v[12:13], v[4:5]
	v_pk_mul_f32 v[12:13], v[14:15], s[10:11] op_sel_hi:[1,0]
	v_pk_add_f32 v[14:15], v[0:1], v[6:7] op_sel:[0,1] op_sel_hi:[1,0] neg_lo:[0,1] neg_hi:[0,1]
	v_pk_add_f32 v[22:23], v[22:23], v[28:29] neg_lo:[0,1] neg_hi:[0,1]
	v_pk_fma_f32 v[10:11], v[10:11], 0.5, v[30:31] op_sel_hi:[1,0,1] neg_lo:[1,0,0] neg_hi:[1,0,0]
	v_pk_add_f32 v[0:1], v[0:1], v[6:7] op_sel:[0,1] op_sel_hi:[1,0]
	v_pk_add_f32 v[6:7], v[14:15], v[12:13] op_sel:[0,1] op_sel_hi:[1,0]
	v_pk_mul_f32 v[14:15], v[40:41], s[6:7] op_sel_hi:[1,0]
	v_pk_add_f32 v[8:9], v[22:23], v[8:9]
	v_pk_mul_f32 v[20:21], v[38:39], s[10:11] op_sel_hi:[1,0]
	v_pk_add_f32 v[22:23], v[10:11], v[14:15] op_sel:[0,1] op_sel_hi:[1,0] neg_lo:[0,1] neg_hi:[0,1]
	v_pk_add_f32 v[10:11], v[10:11], v[14:15] op_sel:[0,1] op_sel_hi:[1,0]
	v_pk_add_f32 v[14:15], v[22:23], v[20:21] op_sel:[0,1] op_sel_hi:[1,0]
	v_pk_add_f32 v[10:11], v[10:11], v[20:21] op_sel:[0,1] op_sel_hi:[1,0] neg_lo:[0,1] neg_hi:[0,1]
	v_mov_b32_e32 v20, v14
	v_mov_b32_e32 v21, v11
	v_pk_fma_f32 v[20:21], v[4:5], s[8:9], v[20:21] op_sel_hi:[1,0,1]
	v_mov_b32_e32 v11, v15
	v_pk_add_f32 v[0:1], v[0:1], v[12:13] op_sel:[0,1] op_sel_hi:[1,0] neg_lo:[0,1] neg_hi:[0,1]
	v_pk_mul_f32 v[22:23], v[20:21], s[6:7] op_sel_hi:[1,0]
	v_pk_fma_f32 v[4:5], v[4:5], s[8:9], v[10:11] op_sel_hi:[1,0,1]
	v_mov_b32_e32 v12, v6
	v_mov_b32_e32 v13, v1
	v_pk_fma_f32 v[26:27], v[20:21], s[8:9], v[22:23] op_sel:[0,0,1] op_sel_hi:[1,0,0]
	v_pk_fma_f32 v[20:21], v[20:21], s[8:9], v[22:23] op_sel:[0,0,1] op_sel_hi:[1,0,0] neg_lo:[0,0,1] neg_hi:[0,0,1]
	v_mov_b32_e32 v1, v7
	v_pk_mul_f32 v[6:7], v[4:5], s[8:9] op_sel_hi:[1,0]
	v_pk_fma_f32 v[12:13], v[8:9], s[8:9], v[12:13] op_sel_hi:[1,0,1]
	v_mov_b32_e32 v27, v21
	v_pk_fma_f32 v[0:1], v[8:9], s[8:9], v[0:1] op_sel_hi:[1,0,1]
	v_pk_fma_f32 v[4:5], v[4:5], s[14:15], v[6:7] op_sel:[0,0,1] op_sel_hi:[1,1,0] neg_lo:[0,0,1] neg_hi:[0,0,1]
	v_pk_add_f32 v[20:21], v[12:13], v[26:27]
	v_pk_add_f32 v[6:7], v[0:1], v[4:5] op_sel:[0,1] op_sel_hi:[1,0]
	v_mov_b32_e32 v33, v43
	ds_write2_b64 v42, v[20:21], v[6:7] offset0:60 offset1:90
	v_pk_fma_f32 v[6:7], v[36:37], s[8:9], v[32:33] op_sel_hi:[1,0,1]
	v_mov_b32_e32 v3, v25
	v_pk_mul_f32 v[8:9], v[6:7], s[12:13] op_sel_hi:[1,0]
	v_pk_fma_f32 v[2:3], v[34:35], s[8:9], v[2:3] op_sel_hi:[1,0,1]
	v_pk_fma_f32 v[6:7], v[6:7], s[16:17], v[8:9] op_sel:[0,0,1] op_sel_hi:[1,1,0] neg_lo:[0,0,1] neg_hi:[0,0,1]
	v_pk_add_f32 v[10:11], v[44:45], v[46:47] neg_lo:[0,1] neg_hi:[0,1]
	v_pk_add_f32 v[8:9], v[2:3], v[6:7] op_sel:[0,1] op_sel_hi:[1,0]
	v_lshlrev_b32_e32 v20, 1, v18
	v_mov_b32_e32 v21, 0
	ds_write2_b64 v42, v[8:9], v[10:11] offset0:120 offset1:150
	v_pk_add_f32 v[8:9], v[50:51], v[48:49] neg_lo:[0,1] neg_hi:[0,1]
	v_pk_add_f32 v[10:11], v[12:13], v[26:27] neg_lo:[0,1] neg_hi:[0,1]
	v_pk_add_f32 v[0:1], v[0:1], v[4:5] op_sel:[0,1] op_sel_hi:[1,0] neg_lo:[0,1] neg_hi:[0,1]
	v_pk_add_f32 v[2:3], v[2:3], v[6:7] op_sel:[0,1] op_sel_hi:[1,0] neg_lo:[0,1] neg_hi:[0,1]
	v_add_u32_e32 v4, 0x400, v42
	v_lshl_add_u64 v[22:23], v[20:21], 3, s[4:5]
	ds_write2_b64 v42, v[8:9], v[10:11] offset0:180 offset1:210
	ds_write2_b64 v4, v[0:1], v[2:3] offset0:112 offset1:142
	s_waitcnt lgkmcnt(0)
	s_barrier
	global_load_dwordx4 v[8:11], v[22:23], off offset:2376
	v_lshlrev_b32_e32 v0, 1, v83
	v_mov_b32_e32 v1, v21
	v_lshl_add_u64 v[24:25], v[0:1], 3, s[4:5]
	v_add_u32_e32 v28, 0x32a, v18
	global_load_dwordx4 v[4:7], v[24:25], off offset:2376
	v_lshrrev_b16_e32 v26, 2, v28
	v_add_u32_e32 v0, 0x12c, v20
	v_mul_u32_u24_e32 v26, 0x6d3b, v26
	v_lshl_add_u64 v[0:1], v[0:1], 3, s[4:5]
	v_lshrrev_b32_e32 v26, 21, v26
	global_load_dwordx4 v[0:3], v[0:1], off offset:2376
	v_mul_lo_u16_e32 v26, 0x12c, v26
	v_add_u32_e32 v12, 0x78, v20
	v_mov_b32_e32 v13, v21
	v_sub_u16_e32 v126, v28, v26
	v_lshl_add_u64 v[12:13], v[12:13], 3, s[4:5]
	v_lshlrev_b32_e32 v26, 4, v126
	global_load_dwordx4 v[32:35], v26, s[4:5] offset:2376
	v_add_u32_e32 v29, 0x2d0, v18
	global_load_dwordx4 v[12:15], v[12:13], off offset:2376
	v_lshrrev_b16_e32 v26, 2, v29
	v_mul_u32_u24_e32 v26, 0x6d3b, v26
	v_lshrrev_b32_e32 v26, 21, v26
	v_mul_lo_u16_e32 v26, 0x12c, v26
	v_sub_u16_e32 v127, v29, v26
	v_lshlrev_b32_e32 v26, 4, v127
	global_load_dwordx4 v[36:39], v26, s[4:5] offset:2376
	v_add_u32_e32 v30, 0x276, v18
	v_lshrrev_b16_e32 v26, 2, v30
	v_mul_u32_u24_e32 v26, 0x6d3b, v26
	v_lshrrev_b32_e32 v26, 21, v26
	v_mul_lo_u16_e32 v26, 0x12c, v26
	v_sub_u16_e32 v128, v30, v26
	v_lshlrev_b32_e32 v26, 4, v128
	v_add_u32_e32 v31, 0x21c, v18
	global_load_dwordx4 v[40:43], v26, s[4:5] offset:2376
	v_lshrrev_b16_e32 v26, 2, v31
	v_mul_u32_u24_e32 v26, 0x6d3b, v26
	v_lshrrev_b32_e32 v129, 21, v26
	v_mul_lo_u16_e32 v26, 0x12c, v129
	v_sub_u16_e32 v130, v31, v26
	v_lshlrev_b32_e32 v26, 4, v130
	global_load_dwordx4 v[44:47], v26, s[4:5] offset:2376
	v_lshlrev_b32_e32 v26, 1, v82
	v_mov_b32_e32 v27, v21
	v_lshl_add_u64 v[26:27], v[26:27], 3, s[4:5]
	v_add_u32_e32 v131, 0x10e, v18
	v_subrev_u32_e32 v52, 30, v18
	global_load_dwordx4 v[48:51], v[26:27], off offset:2376
	v_cndmask_b32_e32 v132, v52, v131, vcc
	v_lshlrev_b32_e32 v52, 1, v132
	v_mov_b32_e32 v53, v21
	v_lshl_add_u64 v[52:53], v[52:53], 3, s[4:5]
	global_load_dwordx4 v[52:55], v[52:53], off offset:2376
	ds_read2_b64 v[56:59], v80 offset0:132 offset1:222
	ds_read2_b64 v[60:63], v79 offset0:8 offset1:98
	ds_read2_b64 v[64:67], v69 offset0:108 offset1:198
	ds_read2_b64 v[82:85], v19 offset0:112 offset1:202
	v_cmp_lt_u32_e32 vcc, 29, v18
	s_waitcnt vmcnt(9) lgkmcnt(3)
	v_pk_mul_f32 v[86:87], v[8:9], v[56:57] op_sel:[0,1]
	s_nop 0
	v_pk_fma_f32 v[88:89], v[8:9], v[56:57], v[86:87] op_sel:[0,0,1] op_sel_hi:[1,1,0] neg_lo:[0,0,1] neg_hi:[0,0,1]
	v_pk_fma_f32 v[8:9], v[8:9], v[56:57], v[86:87] op_sel:[0,0,1] op_sel_hi:[1,0,0]
	s_waitcnt lgkmcnt(2)
	v_pk_mul_f32 v[56:57], v[10:11], v[60:61] op_sel:[0,1]
	v_mov_b32_e32 v89, v9
	v_pk_fma_f32 v[86:87], v[10:11], v[60:61], v[56:57] op_sel:[0,0,1] op_sel_hi:[1,1,0] neg_lo:[0,0,1] neg_hi:[0,0,1]
	v_pk_fma_f32 v[10:11], v[10:11], v[60:61], v[56:57] op_sel:[0,0,1] op_sel_hi:[1,0,0]
	s_waitcnt vmcnt(8)
	v_pk_mul_f32 v[56:57], v[58:59], v[4:5] op_sel:[0,1]
	v_mov_b32_e32 v87, v11
	v_pk_fma_f32 v[60:61], v[58:59], v[4:5], v[56:57] op_sel:[0,0,1] op_sel_hi:[1,1,0] neg_lo:[0,0,1] neg_hi:[0,0,1]
	v_pk_fma_f32 v[56:57], v[58:59], v[4:5], v[56:57] op_sel:[0,0,1] op_sel_hi:[1,0,0]
	v_mov_b32_e32 v4, v7
	v_pk_mul_f32 v[4:5], v[62:63], v[4:5] op_sel_hi:[1,0]
	v_mov_b32_e32 v61, v57
	v_pk_fma_f32 v[58:59], v[62:63], v[6:7], v[4:5] op_sel:[0,0,1] op_sel_hi:[1,1,0] neg_lo:[0,0,1] neg_hi:[0,0,1]
	v_pk_fma_f32 v[62:63], v[62:63], v[6:7], v[4:5] op_sel:[0,0,1] op_sel_hi:[1,0,0]
	s_waitcnt vmcnt(7) lgkmcnt(1)
	v_pk_mul_f32 v[4:5], v[66:67], v[0:1] op_sel:[0,1]
	v_mov_b32_e32 v59, v63
	v_pk_fma_f32 v[90:91], v[66:67], v[0:1], v[4:5] op_sel:[0,0,1] op_sel_hi:[1,1,0] neg_lo:[0,0,1] neg_hi:[0,0,1]
	v_pk_fma_f32 v[66:67], v[66:67], v[0:1], v[4:5] op_sel:[0,0,1] op_sel_hi:[1,0,0]
	v_mov_b32_e32 v0, v3
	s_waitcnt lgkmcnt(0)
	v_pk_mul_f32 v[0:1], v[84:85], v[0:1] op_sel_hi:[1,0]
	s_waitcnt vmcnt(5)
	v_mov_b32_e32 v4, v15
	v_pk_fma_f32 v[92:93], v[84:85], v[2:3], v[0:1] op_sel:[0,0,1] op_sel_hi:[1,1,0] neg_lo:[0,0,1] neg_hi:[0,0,1]
	v_pk_fma_f32 v[84:85], v[84:85], v[2:3], v[0:1] op_sel:[0,0,1] op_sel_hi:[1,0,0]
	v_pk_mul_f32 v[0:1], v[64:65], v[12:13] op_sel:[0,1]
	v_pk_mul_f32 v[4:5], v[82:83], v[4:5] op_sel_hi:[1,0]
	v_pk_fma_f32 v[94:95], v[64:65], v[12:13], v[0:1] op_sel:[0,0,1] op_sel_hi:[1,1,0] neg_lo:[0,0,1] neg_hi:[0,0,1]
	v_pk_fma_f32 v[12:13], v[64:65], v[12:13], v[0:1] op_sel:[0,0,1] op_sel_hi:[1,0,0]
	ds_read2_b64 v[0:3], v75 offset0:84 offset1:174
	v_pk_fma_f32 v[64:65], v[82:83], v[14:15], v[4:5] op_sel:[0,0,1] op_sel_hi:[1,1,0] neg_lo:[0,0,1] neg_hi:[0,0,1]
	v_pk_fma_f32 v[14:15], v[82:83], v[14:15], v[4:5] op_sel:[0,0,1] op_sel_hi:[1,0,0]
	ds_read2_b64 v[4:7], v73 offset0:88 offset1:178
	v_mov_b32_e32 v91, v67
	s_waitcnt lgkmcnt(1)
	v_pk_mul_f32 v[82:83], v[2:3], v[32:33] op_sel:[0,1]
	v_mov_b32_e32 v93, v85
	v_pk_fma_f32 v[96:97], v[2:3], v[32:33], v[82:83] op_sel:[0,0,1] op_sel_hi:[1,1,0] neg_lo:[0,0,1] neg_hi:[0,0,1]
	v_pk_fma_f32 v[82:83], v[2:3], v[32:33], v[82:83] op_sel:[0,0,1] op_sel_hi:[1,0,0]
	v_mov_b32_e32 v2, v35
	s_waitcnt lgkmcnt(0)
	v_pk_mul_f32 v[2:3], v[6:7], v[2:3] op_sel_hi:[1,0]
	v_mov_b32_e32 v95, v13
	v_pk_fma_f32 v[98:99], v[6:7], v[34:35], v[2:3] op_sel:[0,0,1] op_sel_hi:[1,1,0] neg_lo:[0,0,1] neg_hi:[0,0,1]
	v_pk_fma_f32 v[100:101], v[6:7], v[34:35], v[2:3] op_sel:[0,0,1] op_sel_hi:[1,0,0]
	s_waitcnt vmcnt(4)
	v_pk_mul_f32 v[2:3], v[0:1], v[36:37] op_sel:[0,1]
	v_mov_b32_e32 v6, v39
	v_pk_fma_f32 v[102:103], v[0:1], v[36:37], v[2:3] op_sel:[0,0,1] op_sel_hi:[1,1,0] neg_lo:[0,0,1] neg_hi:[0,0,1]
	v_pk_fma_f32 v[36:37], v[0:1], v[36:37], v[2:3] op_sel:[0,0,1] op_sel_hi:[1,0,0]
	ds_read2_b64 v[0:3], v71 offset0:160 offset1:250
	v_pk_mul_f32 v[6:7], v[4:5], v[6:7] op_sel_hi:[1,0]
	v_mov_b32_e32 v65, v15
	v_pk_fma_f32 v[104:105], v[4:5], v[38:39], v[6:7] op_sel:[0,0,1] op_sel_hi:[1,1,0] neg_lo:[0,0,1] neg_hi:[0,0,1]
	v_pk_fma_f32 v[38:39], v[4:5], v[38:39], v[6:7] op_sel:[0,0,1] op_sel_hi:[1,0,0]
	ds_read2_b64 v[4:7], v70 offset0:36 offset1:126
	s_waitcnt vmcnt(3) lgkmcnt(1)
	v_pk_mul_f32 v[32:33], v[2:3], v[40:41] op_sel:[0,1]
	v_lshl_add_u32 v13, v128, 3, 0
	v_pk_fma_f32 v[106:107], v[2:3], v[40:41], v[32:33] op_sel:[0,0,1] op_sel_hi:[1,1,0] neg_lo:[0,0,1] neg_hi:[0,0,1]
	v_pk_fma_f32 v[40:41], v[2:3], v[40:41], v[32:33] op_sel:[0,0,1] op_sel_hi:[1,0,0]
	v_mov_b32_e32 v2, v43
	s_waitcnt lgkmcnt(0)
	v_pk_mul_f32 v[2:3], v[6:7], v[2:3] op_sel_hi:[1,0]
	v_mov_b32_e32 v107, v41
	v_pk_fma_f32 v[108:109], v[6:7], v[42:43], v[2:3] op_sel:[0,0,1] op_sel_hi:[1,1,0] neg_lo:[0,0,1] neg_hi:[0,0,1]
	v_pk_fma_f32 v[42:43], v[6:7], v[42:43], v[2:3] op_sel:[0,0,1] op_sel_hi:[1,0,0]
	s_waitcnt vmcnt(2)
	v_pk_mul_f32 v[2:3], v[0:1], v[44:45] op_sel:[0,1]
	v_mov_b32_e32 v6, v47
	v_pk_fma_f32 v[110:111], v[0:1], v[44:45], v[2:3] op_sel:[0,0,1] op_sel_hi:[1,1,0] neg_lo:[0,0,1] neg_hi:[0,0,1]
	v_pk_fma_f32 v[44:45], v[0:1], v[44:45], v[2:3] op_sel:[0,0,1] op_sel_hi:[1,0,0]
	ds_read2_b64 v[0:3], v78 offset0:56 offset1:146
	v_pk_mul_f32 v[6:7], v[4:5], v[6:7] op_sel_hi:[1,0]
	v_mov_b32_e32 v111, v45
	v_pk_fma_f32 v[112:113], v[4:5], v[46:47], v[6:7] op_sel:[0,0,1] op_sel_hi:[1,1,0] neg_lo:[0,0,1] neg_hi:[0,0,1]
	v_pk_fma_f32 v[46:47], v[4:5], v[46:47], v[6:7] op_sel:[0,0,1] op_sel_hi:[1,0,0]
	ds_read2_b64 v[4:7], v76 offset0:60 offset1:150
	s_waitcnt vmcnt(1) lgkmcnt(1)
	v_pk_mul_f32 v[32:33], v[0:1], v[48:49] op_sel:[0,1]
	v_mov_b32_e32 v113, v47
	v_pk_fma_f32 v[114:115], v[0:1], v[48:49], v[32:33] op_sel:[0,0,1] op_sel_hi:[1,1,0] neg_lo:[0,0,1] neg_hi:[0,0,1]
	v_pk_fma_f32 v[48:49], v[0:1], v[48:49], v[32:33] op_sel:[0,0,1] op_sel_hi:[1,0,0]
	v_mov_b32_e32 v0, v51
	s_waitcnt lgkmcnt(0)
	v_pk_mul_f32 v[0:1], v[4:5], v[0:1] op_sel_hi:[1,0]
	v_mov_b32_e32 v115, v49
	v_pk_fma_f32 v[116:117], v[4:5], v[50:51], v[0:1] op_sel:[0,0,1] op_sel_hi:[1,1,0] neg_lo:[0,0,1] neg_hi:[0,0,1]
	v_pk_fma_f32 v[50:51], v[4:5], v[50:51], v[0:1] op_sel:[0,0,1] op_sel_hi:[1,0,0]
	s_waitcnt vmcnt(0)
	v_pk_mul_f32 v[0:1], v[2:3], v[52:53] op_sel:[0,1]
	v_pk_add_f32 v[4:5], v[88:89], v[86:87]
	v_pk_fma_f32 v[118:119], v[2:3], v[52:53], v[0:1] op_sel:[0,0,1] op_sel_hi:[1,1,0] neg_lo:[0,0,1] neg_hi:[0,0,1]
	v_pk_fma_f32 v[52:53], v[2:3], v[52:53], v[0:1] op_sel:[0,0,1] op_sel_hi:[1,0,0]
	v_mov_b32_e32 v0, v55
	v_pk_mul_f32 v[0:1], v[6:7], v[0:1] op_sel_hi:[1,0]
	v_mov_b32_e32 v117, v51
	v_pk_fma_f32 v[120:121], v[6:7], v[54:55], v[0:1] op_sel:[0,0,1] op_sel_hi:[1,1,0] neg_lo:[0,0,1] neg_hi:[0,0,1]
	v_pk_fma_f32 v[54:55], v[6:7], v[54:55], v[0:1] op_sel:[0,0,1] op_sel_hi:[1,0,0]
	ds_read2_b64 v[0:3], v68 offset1:90
	v_pk_add_f32 v[50:51], v[114:115], v[116:117] neg_lo:[0,1] neg_hi:[0,1]
	v_mov_b32_e32 v119, v53
	v_mov_b32_e32 v121, v55
	;; [unrolled: 1-line block ×3, first 2 shown]
	s_waitcnt lgkmcnt(0)
	v_pk_fma_f32 v[56:57], v[4:5], 0.5, v[0:1] op_sel_hi:[1,0,1] neg_lo:[1,0,0] neg_hi:[1,0,0]
	v_pk_add_f32 v[4:5], v[60:61], v[58:59]
	v_pk_add_f32 v[0:1], v[0:1], v[88:89]
	v_pk_fma_f32 v[62:63], v[4:5], 0.5, v[2:3] op_sel_hi:[1,0,1] neg_lo:[1,0,0] neg_hi:[1,0,0]
	v_pk_add_f32 v[2:3], v[2:3], v[60:61]
	v_pk_add_f32 v[122:123], v[0:1], v[86:87]
	v_pk_add_f32 v[124:125], v[2:3], v[58:59]
	ds_read2_b64 v[0:3], v74 offset0:104 offset1:194
	ds_read2_b64 v[4:7], v81 offset0:52 offset1:142
	;; [unrolled: 1-line block ×4, first 2 shown]
	v_pk_add_f32 v[86:87], v[88:89], v[86:87] neg_lo:[0,1] neg_hi:[0,1]
	v_pk_add_f32 v[58:59], v[60:61], v[58:59] neg_lo:[0,1] neg_hi:[0,1]
	v_pk_mul_f32 v[86:87], v[86:87], s[2:3] op_sel_hi:[1,0]
	v_pk_mul_f32 v[58:59], v[58:59], s[2:3] op_sel_hi:[1,0]
	v_pk_add_f32 v[88:89], v[56:57], v[86:87] op_sel:[0,1] op_sel_hi:[1,0]
	v_pk_add_f32 v[56:57], v[56:57], v[86:87] op_sel:[0,1] op_sel_hi:[1,0] neg_lo:[0,1] neg_hi:[0,1]
	s_waitcnt lgkmcnt(2)
	v_pk_add_f32 v[48:49], v[4:5], v[114:115]
	v_pk_add_f32 v[60:61], v[62:63], v[58:59] op_sel:[0,1] op_sel_hi:[1,0]
	v_pk_add_f32 v[58:59], v[62:63], v[58:59] op_sel:[0,1] op_sel_hi:[1,0] neg_lo:[0,1] neg_hi:[0,1]
	v_mov_b32_e32 v63, v57
	v_mov_b32_e32 v62, v88
	v_pk_add_f32 v[48:49], v[48:49], v[116:117]
	s_waitcnt lgkmcnt(0)
	s_barrier
	ds_write2_b64 v81, v[48:49], v[62:63] offset0:52 offset1:172
	v_pk_add_f32 v[48:49], v[114:115], v[116:117]
	v_mov_b32_e32 v87, v59
	v_pk_fma_f32 v[4:5], v[48:49], 0.5, v[4:5] op_sel_hi:[1,0,1] neg_lo:[1,0,0] neg_hi:[1,0,0]
	v_pk_mul_f32 v[48:49], v[50:51], s[2:3] op_sel_hi:[1,0]
	v_mov_b32_e32 v86, v60
	v_pk_add_f32 v[50:51], v[4:5], v[48:49] op_sel:[0,1] op_sel_hi:[1,0]
	v_pk_add_f32 v[4:5], v[4:5], v[48:49] op_sel:[0,1] op_sel_hi:[1,0] neg_lo:[0,1] neg_hi:[0,1]
	v_mov_b32_e32 v48, v50
	v_mov_b32_e32 v49, v5
	;; [unrolled: 1-line block ×3, first 2 shown]
	ds_write2_b64 v74, v[86:87], v[48:49] offset0:134 offset1:224
	v_pk_add_f32 v[48:49], v[118:119], v[120:121]
	ds_write_b64 v68, v[4:5] offset:6240
	v_mov_b32_e32 v4, 0x1c20
	v_pk_fma_f32 v[48:49], v[48:49], 0.5, v[6:7] op_sel_hi:[1,0,1] neg_lo:[1,0,0] neg_hi:[1,0,0]
	v_pk_add_f32 v[6:7], v[6:7], v[118:119]
	v_cndmask_b32_e32 v4, 0, v4, vcc
	v_lshlrev_b32_e32 v5, 3, v132
	v_mov_b32_e32 v57, v89
	v_mov_b32_e32 v59, v61
	v_add3_u32 v12, 0, v4, v5
	v_pk_add_f32 v[4:5], v[6:7], v[120:121]
	ds_write2_b64 v68, v[122:123], v[124:125] offset1:90
	ds_write2_b64 v72, v[56:57], v[58:59] offset0:88 offset1:178
	ds_write_b64 v12, v[4:5]
	v_pk_add_f32 v[4:5], v[118:119], v[120:121] neg_lo:[0,1] neg_hi:[0,1]
	v_mov_b32_e32 v103, v37
	v_pk_mul_f32 v[4:5], v[4:5], s[2:3] op_sel_hi:[1,0]
	v_mov_b32_e32 v105, v39
	v_pk_add_f32 v[6:7], v[48:49], v[4:5] op_sel:[0,1] op_sel_hi:[1,0]
	v_pk_add_f32 v[4:5], v[48:49], v[4:5] op_sel:[0,1] op_sel_hi:[1,0] neg_lo:[0,1] neg_hi:[0,1]
	v_mov_b32_e32 v48, v6
	v_mov_b32_e32 v49, v5
	;; [unrolled: 1-line block ×3, first 2 shown]
	ds_write_b64 v12, v[4:5] offset:4800
	v_pk_add_f32 v[4:5], v[90:91], v[92:93]
	v_pk_add_f32 v[6:7], v[94:95], v[64:65]
	v_pk_fma_f32 v[4:5], v[4:5], 0.5, v[2:3] op_sel_hi:[1,0,1] neg_lo:[1,0,0] neg_hi:[1,0,0]
	v_pk_fma_f32 v[6:7], v[6:7], 0.5, v[0:1] op_sel_hi:[1,0,1] neg_lo:[1,0,0] neg_hi:[1,0,0]
	v_pk_add_f32 v[0:1], v[0:1], v[94:95]
	v_pk_add_f32 v[2:3], v[2:3], v[90:91]
	ds_write_b64 v12, v[48:49] offset:2400
	v_pk_add_f32 v[0:1], v[0:1], v[64:65]
	v_pk_add_f32 v[2:3], v[2:3], v[92:93]
	v_add_u32_e32 v12, 0x1c00, v68
	ds_write2_b64 v12, v[0:1], v[2:3] offset0:64 offset1:154
	v_pk_add_f32 v[0:1], v[90:91], v[92:93] neg_lo:[0,1] neg_hi:[0,1]
	v_mov_b32_e32 v97, v83
	v_pk_mul_f32 v[0:1], v[0:1], s[2:3] op_sel_hi:[1,0]
	v_mov_b32_e32 v99, v101
	v_pk_add_f32 v[2:3], v[4:5], v[0:1] op_sel:[0,1] op_sel_hi:[1,0] neg_lo:[0,1] neg_hi:[0,1]
	v_pk_add_f32 v[0:1], v[4:5], v[0:1] op_sel:[0,1] op_sel_hi:[1,0]
	v_pk_add_f32 v[4:5], v[94:95], v[64:65] neg_lo:[0,1] neg_hi:[0,1]
	v_mov_b32_e32 v48, v0
	v_pk_mul_f32 v[4:5], v[4:5], s[2:3] op_sel_hi:[1,0]
	v_mov_b32_e32 v49, v3
	v_pk_add_f32 v[14:15], v[6:7], v[4:5] op_sel:[0,1] op_sel_hi:[1,0]
	v_pk_add_f32 v[4:5], v[6:7], v[4:5] op_sel:[0,1] op_sel_hi:[1,0] neg_lo:[0,1] neg_hi:[0,1]
	v_mov_b32_e32 v6, v14
	v_mov_b32_e32 v7, v5
	;; [unrolled: 1-line block ×3, first 2 shown]
	v_mul_u32_u24_e32 v0, 0x1c20, v129
	v_lshlrev_b32_e32 v1, 3, v130
	ds_write2_b64 v69, v[6:7], v[48:49] offset0:108 offset1:198
	v_add3_u32 v6, 0, v0, v1
	v_pk_add_f32 v[0:1], v[32:33], v[110:111]
	v_mov_b32_e32 v5, v15
	v_pk_add_f32 v[0:1], v[0:1], v[112:113]
	ds_write2_b64 v75, v[4:5], v[2:3] offset0:24 offset1:114
	ds_write_b64 v6, v[0:1]
	v_pk_add_f32 v[0:1], v[110:111], v[112:113]
	v_pk_add_f32 v[2:3], v[110:111], v[112:113] neg_lo:[0,1] neg_hi:[0,1]
	v_pk_fma_f32 v[0:1], v[0:1], 0.5, v[32:33] op_sel_hi:[1,0,1] neg_lo:[1,0,0] neg_hi:[1,0,0]
	v_pk_mul_f32 v[2:3], v[2:3], s[2:3] op_sel_hi:[1,0]
	v_lshl_add_u32 v32, v127, 3, 0
	v_pk_add_f32 v[4:5], v[0:1], v[2:3] op_sel:[0,1] op_sel_hi:[1,0]
	v_pk_add_f32 v[0:1], v[0:1], v[2:3] op_sel:[0,1] op_sel_hi:[1,0] neg_lo:[0,1] neg_hi:[0,1]
	v_mov_b32_e32 v2, v4
	v_mov_b32_e32 v3, v1
	v_mov_b32_e32 v1, v5
	v_pk_add_f32 v[4:5], v[34:35], v[106:107]
	ds_write_b64 v6, v[2:3] offset:2400
	v_pk_add_f32 v[4:5], v[4:5], v[108:109]
	ds_write_b64 v6, v[0:1] offset:4800
	ds_write_b64 v13, v[4:5] offset:14400
	v_pk_add_f32 v[4:5], v[106:107], v[108:109]
	v_pk_add_f32 v[6:7], v[106:107], v[108:109] neg_lo:[0,1] neg_hi:[0,1]
	v_pk_fma_f32 v[4:5], v[4:5], 0.5, v[34:35] op_sel_hi:[1,0,1] neg_lo:[1,0,0] neg_hi:[1,0,0]
	v_pk_mul_f32 v[6:7], v[6:7], s[2:3] op_sel_hi:[1,0]
	v_pk_add_f32 v[2:3], v[8:9], v[102:103]
	v_pk_add_f32 v[14:15], v[4:5], v[6:7] op_sel:[0,1] op_sel_hi:[1,0]
	v_pk_add_f32 v[4:5], v[4:5], v[6:7] op_sel:[0,1] op_sel_hi:[1,0] neg_lo:[0,1] neg_hi:[0,1]
	v_pk_add_f32 v[2:3], v[2:3], v[104:105]
	v_mov_b32_e32 v6, v14
	v_mov_b32_e32 v7, v5
	v_mov_b32_e32 v5, v15
	ds_write_b64 v13, v[6:7] offset:16800
	ds_write_b64 v13, v[4:5] offset:19200
	ds_write_b64 v32, v[2:3] offset:14400
	v_pk_add_f32 v[2:3], v[102:103], v[104:105]
	v_pk_add_f32 v[4:5], v[102:103], v[104:105] neg_lo:[0,1] neg_hi:[0,1]
	v_pk_fma_f32 v[2:3], v[2:3], 0.5, v[8:9] op_sel_hi:[1,0,1] neg_lo:[1,0,0] neg_hi:[1,0,0]
	v_pk_mul_f32 v[4:5], v[4:5], s[2:3] op_sel_hi:[1,0]
	v_pk_add_f32 v[0:1], v[10:11], v[96:97]
	v_pk_add_f32 v[6:7], v[2:3], v[4:5] op_sel:[0,1] op_sel_hi:[1,0]
	v_pk_add_f32 v[2:3], v[2:3], v[4:5] op_sel:[0,1] op_sel_hi:[1,0] neg_lo:[0,1] neg_hi:[0,1]
	v_pk_add_f32 v[0:1], v[0:1], v[98:99]
	v_mov_b32_e32 v4, v6
	v_mov_b32_e32 v5, v3
	;; [unrolled: 1-line block ×3, first 2 shown]
	v_lshl_add_u32 v33, v126, 3, 0
	ds_write_b64 v32, v[4:5] offset:16800
	ds_write_b64 v32, v[2:3] offset:19200
	;; [unrolled: 1-line block ×3, first 2 shown]
	v_pk_add_f32 v[0:1], v[96:97], v[98:99]
	v_pk_add_f32 v[2:3], v[96:97], v[98:99] neg_lo:[0,1] neg_hi:[0,1]
	v_pk_fma_f32 v[0:1], v[0:1], 0.5, v[10:11] op_sel_hi:[1,0,1] neg_lo:[1,0,0] neg_hi:[1,0,0]
	v_pk_mul_f32 v[2:3], v[2:3], s[2:3] op_sel_hi:[1,0]
	v_add_u32_e32 v8, 0x2d0, v20
	v_pk_add_f32 v[4:5], v[0:1], v[2:3] op_sel:[0,1] op_sel_hi:[1,0]
	v_pk_add_f32 v[0:1], v[0:1], v[2:3] op_sel:[0,1] op_sel_hi:[1,0] neg_lo:[0,1] neg_hi:[0,1]
	v_mov_b32_e32 v2, v4
	v_mov_b32_e32 v3, v1
	;; [unrolled: 1-line block ×3, first 2 shown]
	ds_write_b64 v33, v[0:1] offset:19200
	v_add_co_u32_e32 v0, vcc, s3, v26
	v_lshlrev_b32_e32 v4, 1, v131
	s_nop 0
	v_addc_co_u32_e32 v1, vcc, 0, v27, vcc
	v_mov_b32_e32 v5, v21
	ds_write_b64 v33, v[2:3] offset:16800
	s_waitcnt lgkmcnt(0)
	s_barrier
	global_load_dwordx4 v[0:3], v[0:1], off offset:3080
	v_lshl_add_u64 v[4:5], v[4:5], 3, s[4:5]
	v_add_co_u32_e32 v4, vcc, s3, v4
	v_mov_b32_e32 v9, v21
	s_nop 0
	v_addc_co_u32_e32 v5, vcc, 0, v5, vcc
	global_load_dwordx4 v[4:7], v[4:5], off offset:3080
	v_lshl_add_u64 v[8:9], v[8:9], 3, s[4:5]
	v_add_co_u32_e32 v8, vcc, s3, v8
	v_add_u32_e32 v20, 0x384, v20
	s_nop 0
	v_addc_co_u32_e32 v9, vcc, 0, v9, vcc
	global_load_dwordx4 v[8:11], v[8:9], off offset:3080
	v_lshl_add_u64 v[14:15], v[20:21], 3, s[4:5]
	v_add_co_u32_e32 v14, vcc, s3, v14
	v_lshlrev_b32_e32 v20, 1, v31
	s_nop 0
	v_addc_co_u32_e32 v15, vcc, 0, v15, vcc
	global_load_dwordx4 v[32:35], v[14:15], off offset:3080
	v_lshl_add_u64 v[14:15], v[20:21], 3, s[4:5]
	v_add_co_u32_e32 v14, vcc, s3, v14
	v_lshlrev_b32_e32 v20, 1, v30
	;; [unrolled: 6-line block ×4, first 2 shown]
	s_nop 0
	v_addc_co_u32_e32 v15, vcc, 0, v15, vcc
	global_load_dwordx4 v[44:47], v[14:15], off offset:3080
	v_lshl_add_u64 v[14:15], v[20:21], 3, s[4:5]
	v_add_co_u32_e32 v14, vcc, s3, v14
	s_nop 1
	v_addc_co_u32_e32 v15, vcc, 0, v15, vcc
	global_load_dwordx4 v[26:29], v[14:15], off offset:3080
	v_add_co_u32_e32 v14, vcc, s3, v22
	s_nop 1
	v_addc_co_u32_e32 v15, vcc, 0, v23, vcc
	global_load_dwordx4 v[48:51], v[14:15], off offset:3080
	;; [unrolled: 4-line block ×3, first 2 shown]
	ds_read2_b64 v[52:55], v78 offset0:56 offset1:146
	ds_read2_b64 v[56:59], v76 offset0:60 offset1:150
	s_waitcnt vmcnt(9) lgkmcnt(1)
	v_pk_mul_f32 v[14:15], v[52:53], v[0:1] op_sel:[0,1]
	s_nop 0
	v_pk_fma_f32 v[30:31], v[52:53], v[0:1], v[14:15] op_sel:[0,0,1] op_sel_hi:[1,1,0] neg_lo:[0,0,1] neg_hi:[0,0,1]
	v_pk_fma_f32 v[52:53], v[52:53], v[0:1], v[14:15] op_sel:[0,0,1] op_sel_hi:[1,0,0]
	v_mov_b32_e32 v0, v3
	s_waitcnt lgkmcnt(0)
	v_pk_mul_f32 v[0:1], v[56:57], v[0:1] op_sel_hi:[1,0]
	v_mov_b32_e32 v31, v53
	v_pk_fma_f32 v[60:61], v[56:57], v[2:3], v[0:1] op_sel:[0,0,1] op_sel_hi:[1,1,0] neg_lo:[0,0,1] neg_hi:[0,0,1]
	v_pk_fma_f32 v[56:57], v[56:57], v[2:3], v[0:1] op_sel:[0,0,1] op_sel_hi:[1,0,0]
	s_waitcnt vmcnt(8)
	v_pk_mul_f32 v[0:1], v[54:55], v[4:5] op_sel:[0,1]
	v_mov_b32_e32 v61, v57
	v_pk_fma_f32 v[62:63], v[54:55], v[4:5], v[0:1] op_sel:[0,0,1] op_sel_hi:[1,1,0] neg_lo:[0,0,1] neg_hi:[0,0,1]
	v_pk_fma_f32 v[54:55], v[54:55], v[4:5], v[0:1] op_sel:[0,0,1] op_sel_hi:[1,0,0]
	v_mov_b32_e32 v4, v7
	ds_read2_b64 v[0:3], v69 offset0:108 offset1:198
	v_pk_mul_f32 v[4:5], v[58:59], v[4:5] op_sel_hi:[1,0]
	v_mov_b32_e32 v63, v55
	v_pk_fma_f32 v[64:65], v[58:59], v[6:7], v[4:5] op_sel:[0,0,1] op_sel_hi:[1,1,0] neg_lo:[0,0,1] neg_hi:[0,0,1]
	v_pk_fma_f32 v[58:59], v[58:59], v[6:7], v[4:5] op_sel:[0,0,1] op_sel_hi:[1,0,0]
	ds_read2_b64 v[4:7], v19 offset0:112 offset1:202
	s_waitcnt vmcnt(7) lgkmcnt(1)
	v_pk_mul_f32 v[14:15], v[0:1], v[8:9] op_sel:[0,1]
	v_mov_b32_e32 v65, v59
	v_pk_fma_f32 v[66:67], v[0:1], v[8:9], v[14:15] op_sel:[0,0,1] op_sel_hi:[1,1,0] neg_lo:[0,0,1] neg_hi:[0,0,1]
	v_pk_fma_f32 v[82:83], v[0:1], v[8:9], v[14:15] op_sel:[0,0,1] op_sel_hi:[1,0,0]
	v_mov_b32_e32 v0, v11
	s_waitcnt lgkmcnt(0)
	v_pk_mul_f32 v[0:1], v[4:5], v[0:1] op_sel_hi:[1,0]
	v_mov_b32_e32 v67, v83
	v_pk_fma_f32 v[84:85], v[4:5], v[10:11], v[0:1] op_sel:[0,0,1] op_sel_hi:[1,1,0] neg_lo:[0,0,1] neg_hi:[0,0,1]
	v_pk_fma_f32 v[86:87], v[4:5], v[10:11], v[0:1] op_sel:[0,0,1] op_sel_hi:[1,0,0]
	s_waitcnt vmcnt(6)
	v_pk_mul_f32 v[0:1], v[2:3], v[32:33] op_sel:[0,1]
	v_mov_b32_e32 v4, v35
	v_pk_fma_f32 v[88:89], v[2:3], v[32:33], v[0:1] op_sel:[0,0,1] op_sel_hi:[1,1,0] neg_lo:[0,0,1] neg_hi:[0,0,1]
	v_pk_fma_f32 v[32:33], v[2:3], v[32:33], v[0:1] op_sel:[0,0,1] op_sel_hi:[1,0,0]
	ds_read2_b64 v[0:3], v71 offset0:160 offset1:250
	v_pk_mul_f32 v[4:5], v[6:7], v[4:5] op_sel_hi:[1,0]
	v_mov_b32_e32 v89, v33
	v_pk_fma_f32 v[90:91], v[6:7], v[34:35], v[4:5] op_sel:[0,0,1] op_sel_hi:[1,1,0] neg_lo:[0,0,1] neg_hi:[0,0,1]
	v_pk_fma_f32 v[34:35], v[6:7], v[34:35], v[4:5] op_sel:[0,0,1] op_sel_hi:[1,0,0]
	ds_read2_b64 v[4:7], v70 offset0:36 offset1:126
	s_waitcnt vmcnt(5) lgkmcnt(1)
	v_pk_mul_f32 v[8:9], v[0:1], v[36:37] op_sel:[0,1]
	v_mov_b32_e32 v85, v87
	v_pk_fma_f32 v[92:93], v[0:1], v[36:37], v[8:9] op_sel:[0,0,1] op_sel_hi:[1,1,0] neg_lo:[0,0,1] neg_hi:[0,0,1]
	v_pk_fma_f32 v[36:37], v[0:1], v[36:37], v[8:9] op_sel:[0,0,1] op_sel_hi:[1,0,0]
	v_mov_b32_e32 v0, v39
	s_waitcnt lgkmcnt(0)
	v_pk_mul_f32 v[0:1], v[4:5], v[0:1] op_sel_hi:[1,0]
	v_mov_b32_e32 v91, v35
	v_pk_fma_f32 v[94:95], v[4:5], v[38:39], v[0:1] op_sel:[0,0,1] op_sel_hi:[1,1,0] neg_lo:[0,0,1] neg_hi:[0,0,1]
	v_pk_fma_f32 v[38:39], v[4:5], v[38:39], v[0:1] op_sel:[0,0,1] op_sel_hi:[1,0,0]
	s_waitcnt vmcnt(4)
	v_pk_mul_f32 v[0:1], v[2:3], v[40:41] op_sel:[0,1]
	v_mov_b32_e32 v4, v43
	v_pk_fma_f32 v[96:97], v[2:3], v[40:41], v[0:1] op_sel:[0,0,1] op_sel_hi:[1,1,0] neg_lo:[0,0,1] neg_hi:[0,0,1]
	v_pk_fma_f32 v[40:41], v[2:3], v[40:41], v[0:1] op_sel:[0,0,1] op_sel_hi:[1,0,0]
	ds_read2_b64 v[0:3], v75 offset0:84 offset1:174
	v_pk_mul_f32 v[4:5], v[6:7], v[4:5] op_sel_hi:[1,0]
	v_mov_b32_e32 v93, v37
	v_pk_fma_f32 v[98:99], v[6:7], v[42:43], v[4:5] op_sel:[0,0,1] op_sel_hi:[1,1,0] neg_lo:[0,0,1] neg_hi:[0,0,1]
	v_pk_fma_f32 v[42:43], v[6:7], v[42:43], v[4:5] op_sel:[0,0,1] op_sel_hi:[1,0,0]
	ds_read2_b64 v[4:7], v73 offset0:88 offset1:178
	s_waitcnt vmcnt(3) lgkmcnt(1)
	v_pk_mul_f32 v[8:9], v[0:1], v[44:45] op_sel:[0,1]
	v_mov_b32_e32 v97, v41
	v_pk_fma_f32 v[100:101], v[0:1], v[44:45], v[8:9] op_sel:[0,0,1] op_sel_hi:[1,1,0] neg_lo:[0,0,1] neg_hi:[0,0,1]
	v_pk_fma_f32 v[44:45], v[0:1], v[44:45], v[8:9] op_sel:[0,0,1] op_sel_hi:[1,0,0]
	v_mov_b32_e32 v0, v47
	s_waitcnt lgkmcnt(0)
	v_pk_mul_f32 v[0:1], v[4:5], v[0:1] op_sel_hi:[1,0]
	v_mov_b32_e32 v95, v39
	v_pk_fma_f32 v[102:103], v[4:5], v[46:47], v[0:1] op_sel:[0,0,1] op_sel_hi:[1,1,0] neg_lo:[0,0,1] neg_hi:[0,0,1]
	v_pk_fma_f32 v[46:47], v[4:5], v[46:47], v[0:1] op_sel:[0,0,1] op_sel_hi:[1,0,0]
	s_waitcnt vmcnt(2)
	v_pk_mul_f32 v[0:1], v[2:3], v[26:27] op_sel:[0,1]
	ds_read_b64 v[4:5], v68 offset:7200
	v_pk_fma_f32 v[104:105], v[2:3], v[26:27], v[0:1] op_sel:[0,0,1] op_sel_hi:[1,1,0] neg_lo:[0,0,1] neg_hi:[0,0,1]
	v_pk_fma_f32 v[26:27], v[2:3], v[26:27], v[0:1] op_sel:[0,0,1] op_sel_hi:[1,0,0]
	v_mov_b32_e32 v0, v29
	v_pk_mul_f32 v[8:9], v[6:7], v[0:1] op_sel_hi:[1,0]
	ds_read2_b64 v[0:3], v79 offset0:8 offset1:98
	v_pk_fma_f32 v[106:107], v[6:7], v[28:29], v[8:9] op_sel:[0,0,1] op_sel_hi:[1,1,0] neg_lo:[0,0,1] neg_hi:[0,0,1]
	v_pk_fma_f32 v[28:29], v[6:7], v[28:29], v[8:9] op_sel:[0,0,1] op_sel_hi:[1,0,0]
	s_waitcnt vmcnt(1) lgkmcnt(1)
	v_pk_mul_f32 v[6:7], v[48:49], v[4:5] op_sel:[0,1]
	v_mov_b32_e32 v107, v29
	v_pk_fma_f32 v[108:109], v[48:49], v[4:5], v[6:7] op_sel:[0,0,1] op_sel_hi:[1,1,0] neg_lo:[0,0,1] neg_hi:[0,0,1]
	v_pk_fma_f32 v[4:5], v[48:49], v[4:5], v[6:7] op_sel:[0,0,1] op_sel_hi:[1,0,0]
	s_waitcnt lgkmcnt(0)
	v_pk_mul_f32 v[6:7], v[50:51], v[0:1] op_sel:[0,1]
	s_waitcnt vmcnt(0)
	v_mov_b32_e32 v4, v25
	v_pk_fma_f32 v[48:49], v[50:51], v[0:1], v[6:7] op_sel:[0,0,1] op_sel_hi:[1,1,0] neg_lo:[0,0,1] neg_hi:[0,0,1]
	v_pk_fma_f32 v[6:7], v[50:51], v[0:1], v[6:7] op_sel:[0,0,1] op_sel_hi:[1,0,0]
	ds_read2_b32 v[0:1], v12 offset0:188 offset1:189
	v_pk_mul_f32 v[8:9], v[2:3], v[4:5] op_sel_hi:[1,0]
	v_mov_b32_e32 v109, v5
	v_pk_fma_f32 v[50:51], v[2:3], v[24:25], v[8:9] op_sel:[0,0,1] op_sel_hi:[1,1,0] neg_lo:[0,0,1] neg_hi:[0,0,1]
	v_pk_fma_f32 v[8:9], v[2:3], v[24:25], v[8:9] op_sel:[0,0,1] op_sel_hi:[1,0,0]
	s_waitcnt lgkmcnt(0)
	v_mov_b32_e32 v2, v1
	v_pk_mul_f32 v[2:3], v[2:3], v[22:23] op_sel_hi:[0,1]
	v_pk_fma_f32 v[110:111], v[22:23], v[0:1], v[2:3] op_sel:[0,0,1] op_sel_hi:[1,1,0] neg_lo:[0,0,1] neg_hi:[0,0,1]
	v_pk_fma_f32 v[10:11], v[22:23], v[0:1], v[2:3] op_sel:[0,0,1] op_sel_hi:[1,0,0]
	ds_read2_b64 v[0:3], v68 offset1:90
	v_mov_b32_e32 v49, v7
	v_mov_b32_e32 v111, v11
	;; [unrolled: 1-line block ×4, first 2 shown]
	s_waitcnt lgkmcnt(0)
	v_pk_add_f32 v[4:5], v[0:1], v[108:109]
	v_mov_b32_e32 v101, v45
	v_pk_add_f32 v[112:113], v[4:5], v[48:49]
	v_pk_add_f32 v[4:5], v[2:3], v[110:111]
	v_mov_b32_e32 v103, v47
	v_pk_add_f32 v[114:115], v[4:5], v[50:51]
	ds_read2_b64 v[4:7], v81 offset0:52 offset1:142
	ds_read2_b64 v[8:11], v74 offset0:104 offset1:194
	;; [unrolled: 1-line block ×4, first 2 shown]
	s_waitcnt lgkmcnt(0)
	s_barrier
	ds_write2_b64 v68, v[112:113], v[114:115] offset1:90
	v_pk_add_f32 v[112:113], v[108:109], v[48:49]
	v_pk_add_f32 v[48:49], v[108:109], v[48:49] neg_lo:[0,1] neg_hi:[0,1]
	v_pk_fma_f32 v[0:1], v[112:113], 0.5, v[0:1] op_sel_hi:[1,0,1] neg_lo:[1,0,0] neg_hi:[1,0,0]
	v_pk_mul_f32 v[48:49], v[48:49], s[2:3] op_sel_hi:[1,0]
	v_pk_add_f32 v[112:113], v[110:111], v[50:51]
	v_pk_add_f32 v[108:109], v[0:1], v[48:49] op_sel:[0,1] op_sel_hi:[1,0]
	v_pk_add_f32 v[0:1], v[0:1], v[48:49] op_sel:[0,1] op_sel_hi:[1,0] neg_lo:[0,1] neg_hi:[0,1]
	v_pk_add_f32 v[48:49], v[110:111], v[50:51] neg_lo:[0,1] neg_hi:[0,1]
	v_pk_fma_f32 v[2:3], v[112:113], 0.5, v[2:3] op_sel_hi:[1,0,1] neg_lo:[1,0,0] neg_hi:[1,0,0]
	v_pk_mul_f32 v[48:49], v[48:49], s[2:3] op_sel_hi:[1,0]
	v_mov_b32_e32 v105, v27
	v_pk_add_f32 v[50:51], v[2:3], v[48:49] op_sel:[0,1] op_sel_hi:[1,0]
	v_pk_add_f32 v[2:3], v[2:3], v[48:49] op_sel:[0,1] op_sel_hi:[1,0] neg_lo:[0,1] neg_hi:[0,1]
	v_mov_b32_e32 v49, v1
	v_mov_b32_e32 v111, v3
	;; [unrolled: 1-line block ×4, first 2 shown]
	ds_write2_b64 v79, v[0:1], v[2:3] offset0:8 offset1:98
	v_pk_add_f32 v[0:1], v[4:5], v[30:31]
	v_pk_add_f32 v[2:3], v[6:7], v[62:63]
	;; [unrolled: 1-line block ×4, first 2 shown]
	ds_write2_b64 v81, v[0:1], v[2:3] offset0:52 offset1:142
	v_pk_add_f32 v[0:1], v[30:31], v[60:61]
	v_pk_add_f32 v[2:3], v[62:63], v[64:65]
	v_pk_fma_f32 v[0:1], v[0:1], 0.5, v[4:5] op_sel_hi:[1,0,1] neg_lo:[1,0,0] neg_hi:[1,0,0]
	v_pk_add_f32 v[4:5], v[30:31], v[60:61] neg_lo:[0,1] neg_hi:[0,1]
	v_pk_fma_f32 v[2:3], v[2:3], 0.5, v[6:7] op_sel_hi:[1,0,1] neg_lo:[1,0,0] neg_hi:[1,0,0]
	v_pk_mul_f32 v[4:5], v[4:5], s[2:3] op_sel_hi:[1,0]
	v_mov_b32_e32 v48, v108
	v_pk_add_f32 v[6:7], v[0:1], v[4:5] op_sel:[0,1] op_sel_hi:[1,0]
	v_pk_add_f32 v[0:1], v[0:1], v[4:5] op_sel:[0,1] op_sel_hi:[1,0] neg_lo:[0,1] neg_hi:[0,1]
	v_pk_add_f32 v[4:5], v[62:63], v[64:65] neg_lo:[0,1] neg_hi:[0,1]
	v_mov_b32_e32 v110, v50
	v_pk_mul_f32 v[4:5], v[4:5], s[2:3] op_sel_hi:[1,0]
	ds_write2_b64 v80, v[48:49], v[110:111] offset0:132 offset1:222
	v_pk_add_f32 v[30:31], v[2:3], v[4:5] op_sel:[0,1] op_sel_hi:[1,0]
	v_pk_add_f32 v[2:3], v[2:3], v[4:5] op_sel:[0,1] op_sel_hi:[1,0] neg_lo:[0,1] neg_hi:[0,1]
	v_mov_b32_e32 v5, v1
	v_mov_b32_e32 v49, v3
	;; [unrolled: 1-line block ×4, first 2 shown]
	ds_write2_b64 v76, v[0:1], v[2:3] offset0:60 offset1:150
	v_pk_add_f32 v[0:1], v[8:9], v[66:67]
	v_pk_add_f32 v[2:3], v[10:11], v[88:89]
	;; [unrolled: 1-line block ×4, first 2 shown]
	ds_write2_b64 v74, v[0:1], v[2:3] offset0:104 offset1:194
	v_pk_add_f32 v[2:3], v[66:67], v[84:85]
	v_mov_b32_e32 v4, v6
	v_pk_fma_f32 v[2:3], v[2:3], 0.5, v[8:9] op_sel_hi:[1,0,1] neg_lo:[1,0,0] neg_hi:[1,0,0]
	v_pk_add_f32 v[8:9], v[66:67], v[84:85] neg_lo:[0,1] neg_hi:[0,1]
	v_mov_b32_e32 v48, v30
	v_pk_mul_f32 v[8:9], v[8:9], s[2:3] op_sel_hi:[1,0]
	ds_write2_b64 v78, v[4:5], v[48:49] offset0:56 offset1:146
	v_pk_add_f32 v[28:29], v[2:3], v[8:9] op_sel:[0,1] op_sel_hi:[1,0]
	v_pk_add_f32 v[2:3], v[2:3], v[8:9] op_sel:[0,1] op_sel_hi:[1,0] neg_lo:[0,1] neg_hi:[0,1]
	v_mov_b32_e32 v8, v28
	v_mov_b32_e32 v9, v3
	;; [unrolled: 1-line block ×3, first 2 shown]
	v_pk_add_f32 v[28:29], v[88:89], v[90:91]
	v_pk_add_f32 v[4:5], v[12:13], v[92:93]
	v_pk_fma_f32 v[10:11], v[28:29], 0.5, v[10:11] op_sel_hi:[1,0,1] neg_lo:[1,0,0] neg_hi:[1,0,0]
	v_pk_add_f32 v[28:29], v[88:89], v[90:91] neg_lo:[0,1] neg_hi:[0,1]
	v_pk_add_f32 v[6:7], v[14:15], v[96:97]
	v_pk_mul_f32 v[28:29], v[28:29], s[2:3] op_sel_hi:[1,0]
	v_pk_add_f32 v[4:5], v[4:5], v[94:95]
	v_pk_add_f32 v[30:31], v[10:11], v[28:29] op_sel:[0,1] op_sel_hi:[1,0]
	v_pk_add_f32 v[10:11], v[10:11], v[28:29] op_sel:[0,1] op_sel_hi:[1,0] neg_lo:[0,1] neg_hi:[0,1]
	v_mov_b32_e32 v28, v30
	v_mov_b32_e32 v29, v11
	;; [unrolled: 1-line block ×3, first 2 shown]
	v_pk_add_f32 v[6:7], v[6:7], v[98:99]
	ds_write2_b64 v69, v[8:9], v[28:29] offset0:108 offset1:198
	ds_write2_b64 v19, v[2:3], v[10:11] offset0:112 offset1:202
	v_pk_add_f32 v[2:3], v[92:93], v[94:95]
	v_pk_add_f32 v[8:9], v[92:93], v[94:95] neg_lo:[0,1] neg_hi:[0,1]
	v_pk_fma_f32 v[2:3], v[2:3], 0.5, v[12:13] op_sel_hi:[1,0,1] neg_lo:[1,0,0] neg_hi:[1,0,0]
	v_pk_mul_f32 v[8:9], v[8:9], s[2:3] op_sel_hi:[1,0]
	ds_write2_b64 v72, v[4:5], v[6:7] offset0:28 offset1:118
	v_pk_add_f32 v[4:5], v[96:97], v[98:99]
	v_pk_add_f32 v[6:7], v[96:97], v[98:99] neg_lo:[0,1] neg_hi:[0,1]
	v_pk_add_f32 v[10:11], v[2:3], v[8:9] op_sel:[0,1] op_sel_hi:[1,0]
	v_pk_add_f32 v[2:3], v[2:3], v[8:9] op_sel:[0,1] op_sel_hi:[1,0] neg_lo:[0,1] neg_hi:[0,1]
	v_pk_fma_f32 v[4:5], v[4:5], 0.5, v[14:15] op_sel_hi:[1,0,1] neg_lo:[1,0,0] neg_hi:[1,0,0]
	v_pk_mul_f32 v[6:7], v[6:7], s[2:3] op_sel_hi:[1,0]
	v_mov_b32_e32 v8, v10
	v_mov_b32_e32 v9, v3
	;; [unrolled: 1-line block ×3, first 2 shown]
	v_pk_add_f32 v[10:11], v[4:5], v[6:7] op_sel:[0,1] op_sel_hi:[1,0]
	v_pk_add_f32 v[4:5], v[4:5], v[6:7] op_sel:[0,1] op_sel_hi:[1,0] neg_lo:[0,1] neg_hi:[0,1]
	v_pk_add_f32 v[26:27], v[22:23], v[100:101]
	v_mov_b32_e32 v7, v5
	v_mov_b32_e32 v5, v11
	ds_write2_b64 v70, v[2:3], v[4:5] offset0:36 offset1:126
	v_pk_add_f32 v[2:3], v[100:101], v[102:103]
	v_pk_add_f32 v[4:5], v[100:101], v[102:103] neg_lo:[0,1] neg_hi:[0,1]
	v_pk_add_f32 v[0:1], v[24:25], v[104:105]
	v_mov_b32_e32 v6, v10
	v_pk_fma_f32 v[2:3], v[2:3], 0.5, v[22:23] op_sel_hi:[1,0,1] neg_lo:[1,0,0] neg_hi:[1,0,0]
	v_pk_mul_f32 v[4:5], v[4:5], s[2:3] op_sel_hi:[1,0]
	v_pk_add_f32 v[26:27], v[26:27], v[102:103]
	v_pk_add_f32 v[0:1], v[0:1], v[106:107]
	ds_write2_b64 v71, v[8:9], v[6:7] offset0:160 offset1:250
	v_pk_add_f32 v[6:7], v[2:3], v[4:5] op_sel:[0,1] op_sel_hi:[1,0]
	v_pk_add_f32 v[2:3], v[2:3], v[4:5] op_sel:[0,1] op_sel_hi:[1,0] neg_lo:[0,1] neg_hi:[0,1]
	v_mov_b32_e32 v4, v6
	v_mov_b32_e32 v5, v3
	;; [unrolled: 1-line block ×3, first 2 shown]
	ds_write2_b64 v77, v[26:27], v[0:1] offset0:80 offset1:170
	v_pk_add_f32 v[0:1], v[104:105], v[106:107]
	v_pk_add_f32 v[6:7], v[104:105], v[106:107] neg_lo:[0,1] neg_hi:[0,1]
	v_pk_fma_f32 v[0:1], v[0:1], 0.5, v[24:25] op_sel_hi:[1,0,1] neg_lo:[1,0,0] neg_hi:[1,0,0]
	v_pk_mul_f32 v[6:7], v[6:7], s[2:3] op_sel_hi:[1,0]
	s_nop 0
	v_pk_add_f32 v[8:9], v[0:1], v[6:7] op_sel:[0,1] op_sel_hi:[1,0]
	v_pk_add_f32 v[0:1], v[0:1], v[6:7] op_sel:[0,1] op_sel_hi:[1,0] neg_lo:[0,1] neg_hi:[0,1]
	v_mov_b32_e32 v6, v8
	v_mov_b32_e32 v7, v1
	;; [unrolled: 1-line block ×3, first 2 shown]
	ds_write2_b64 v75, v[4:5], v[6:7] offset0:84 offset1:174
	ds_write2_b64 v73, v[2:3], v[0:1] offset0:88 offset1:178
	s_waitcnt lgkmcnt(0)
	s_barrier
	s_and_saveexec_b64 s[2:3], s[0:1]
	s_cbranch_execz .LBB0_19
; %bb.18:
	v_lshl_add_u32 v8, v18, 3, 0
	ds_read2_b64 v[0:3], v8 offset1:90
	v_mov_b32_e32 v19, v21
	v_lshl_add_u64 v[4:5], v[18:19], 3, v[16:17]
	v_add_u32_e32 v6, 0x400, v8
	v_add_u32_e32 v20, 0x5a, v18
	s_waitcnt lgkmcnt(0)
	global_store_dwordx2 v[4:5], v[0:1], off
	ds_read2_b64 v[4:7], v6 offset0:52 offset1:142
	v_lshl_add_u64 v[0:1], v[20:21], 3, v[16:17]
	v_add_u32_e32 v20, 0xb4, v18
	global_store_dwordx2 v[0:1], v[2:3], off
	v_lshl_add_u64 v[0:1], v[20:21], 3, v[16:17]
	s_waitcnt lgkmcnt(0)
	global_store_dwordx2 v[0:1], v[4:5], off
	v_add_u32_e32 v0, 0x800, v8
	ds_read2_b64 v[0:3], v0 offset0:104 offset1:194
	v_add_u32_e32 v20, 0x10e, v18
	v_lshl_add_u64 v[4:5], v[20:21], 3, v[16:17]
	v_add_u32_e32 v20, 0x168, v18
	global_store_dwordx2 v[4:5], v[6:7], off
	v_lshl_add_u64 v[4:5], v[20:21], 3, v[16:17]
	s_waitcnt lgkmcnt(0)
	global_store_dwordx2 v[4:5], v[0:1], off
	v_add_u32_e32 v0, 0x1000, v8
	ds_read2_b64 v[4:7], v0 offset0:28 offset1:118
	v_add_u32_e32 v20, 0x1c2, v18
	;; [unrolled: 9-line block ×13, first 2 shown]
	v_lshl_add_u64 v[4:5], v[20:21], 3, v[16:17]
	v_add_u32_e32 v20, 0x9d8, v18
	global_store_dwordx2 v[4:5], v[6:7], off
	v_lshl_add_u64 v[4:5], v[20:21], 3, v[16:17]
	v_add_u32_e32 v20, 0xa32, v18
	s_waitcnt lgkmcnt(0)
	global_store_dwordx2 v[4:5], v[0:1], off
	v_lshl_add_u64 v[0:1], v[20:21], 3, v[16:17]
	global_store_dwordx2 v[0:1], v[2:3], off
.LBB0_19:
	s_endpgm
	.section	.rodata,"a",@progbits
	.p2align	6, 0x0
	.amdhsa_kernel fft_rtc_fwd_len2700_factors_3_10_10_3_3_wgs_90_tpt_90_halfLds_sp_ip_CI_unitstride_sbrr_C2R_dirReg
		.amdhsa_group_segment_fixed_size 0
		.amdhsa_private_segment_fixed_size 0
		.amdhsa_kernarg_size 88
		.amdhsa_user_sgpr_count 2
		.amdhsa_user_sgpr_dispatch_ptr 0
		.amdhsa_user_sgpr_queue_ptr 0
		.amdhsa_user_sgpr_kernarg_segment_ptr 1
		.amdhsa_user_sgpr_dispatch_id 0
		.amdhsa_user_sgpr_kernarg_preload_length 0
		.amdhsa_user_sgpr_kernarg_preload_offset 0
		.amdhsa_user_sgpr_private_segment_size 0
		.amdhsa_uses_dynamic_stack 0
		.amdhsa_enable_private_segment 0
		.amdhsa_system_sgpr_workgroup_id_x 1
		.amdhsa_system_sgpr_workgroup_id_y 0
		.amdhsa_system_sgpr_workgroup_id_z 0
		.amdhsa_system_sgpr_workgroup_info 0
		.amdhsa_system_vgpr_workitem_id 0
		.amdhsa_next_free_vgpr 154
		.amdhsa_next_free_sgpr 22
		.amdhsa_accum_offset 156
		.amdhsa_reserve_vcc 1
		.amdhsa_float_round_mode_32 0
		.amdhsa_float_round_mode_16_64 0
		.amdhsa_float_denorm_mode_32 3
		.amdhsa_float_denorm_mode_16_64 3
		.amdhsa_dx10_clamp 1
		.amdhsa_ieee_mode 1
		.amdhsa_fp16_overflow 0
		.amdhsa_tg_split 0
		.amdhsa_exception_fp_ieee_invalid_op 0
		.amdhsa_exception_fp_denorm_src 0
		.amdhsa_exception_fp_ieee_div_zero 0
		.amdhsa_exception_fp_ieee_overflow 0
		.amdhsa_exception_fp_ieee_underflow 0
		.amdhsa_exception_fp_ieee_inexact 0
		.amdhsa_exception_int_div_zero 0
	.end_amdhsa_kernel
	.text
.Lfunc_end0:
	.size	fft_rtc_fwd_len2700_factors_3_10_10_3_3_wgs_90_tpt_90_halfLds_sp_ip_CI_unitstride_sbrr_C2R_dirReg, .Lfunc_end0-fft_rtc_fwd_len2700_factors_3_10_10_3_3_wgs_90_tpt_90_halfLds_sp_ip_CI_unitstride_sbrr_C2R_dirReg
                                        ; -- End function
	.section	.AMDGPU.csdata,"",@progbits
; Kernel info:
; codeLenInByte = 18148
; NumSgprs: 28
; NumVgprs: 154
; NumAgprs: 0
; TotalNumVgprs: 154
; ScratchSize: 0
; MemoryBound: 0
; FloatMode: 240
; IeeeMode: 1
; LDSByteSize: 0 bytes/workgroup (compile time only)
; SGPRBlocks: 3
; VGPRBlocks: 19
; NumSGPRsForWavesPerEU: 28
; NumVGPRsForWavesPerEU: 154
; AccumOffset: 156
; Occupancy: 3
; WaveLimiterHint : 1
; COMPUTE_PGM_RSRC2:SCRATCH_EN: 0
; COMPUTE_PGM_RSRC2:USER_SGPR: 2
; COMPUTE_PGM_RSRC2:TRAP_HANDLER: 0
; COMPUTE_PGM_RSRC2:TGID_X_EN: 1
; COMPUTE_PGM_RSRC2:TGID_Y_EN: 0
; COMPUTE_PGM_RSRC2:TGID_Z_EN: 0
; COMPUTE_PGM_RSRC2:TIDIG_COMP_CNT: 0
; COMPUTE_PGM_RSRC3_GFX90A:ACCUM_OFFSET: 38
; COMPUTE_PGM_RSRC3_GFX90A:TG_SPLIT: 0
	.text
	.p2alignl 6, 3212836864
	.fill 256, 4, 3212836864
	.type	__hip_cuid_78e4f27c20fa13ef,@object ; @__hip_cuid_78e4f27c20fa13ef
	.section	.bss,"aw",@nobits
	.globl	__hip_cuid_78e4f27c20fa13ef
__hip_cuid_78e4f27c20fa13ef:
	.byte	0                               ; 0x0
	.size	__hip_cuid_78e4f27c20fa13ef, 1

	.ident	"AMD clang version 19.0.0git (https://github.com/RadeonOpenCompute/llvm-project roc-6.4.0 25133 c7fe45cf4b819c5991fe208aaa96edf142730f1d)"
	.section	".note.GNU-stack","",@progbits
	.addrsig
	.addrsig_sym __hip_cuid_78e4f27c20fa13ef
	.amdgpu_metadata
---
amdhsa.kernels:
  - .agpr_count:     0
    .args:
      - .actual_access:  read_only
        .address_space:  global
        .offset:         0
        .size:           8
        .value_kind:     global_buffer
      - .offset:         8
        .size:           8
        .value_kind:     by_value
      - .actual_access:  read_only
        .address_space:  global
        .offset:         16
        .size:           8
        .value_kind:     global_buffer
      - .actual_access:  read_only
        .address_space:  global
        .offset:         24
        .size:           8
        .value_kind:     global_buffer
      - .offset:         32
        .size:           8
        .value_kind:     by_value
      - .actual_access:  read_only
        .address_space:  global
        .offset:         40
        .size:           8
        .value_kind:     global_buffer
      - .actual_access:  read_only
        .address_space:  global
        .offset:         48
        .size:           8
        .value_kind:     global_buffer
      - .offset:         56
        .size:           4
        .value_kind:     by_value
      - .actual_access:  read_only
        .address_space:  global
        .offset:         64
        .size:           8
        .value_kind:     global_buffer
      - .actual_access:  read_only
        .address_space:  global
        .offset:         72
        .size:           8
        .value_kind:     global_buffer
      - .address_space:  global
        .offset:         80
        .size:           8
        .value_kind:     global_buffer
    .group_segment_fixed_size: 0
    .kernarg_segment_align: 8
    .kernarg_segment_size: 88
    .language:       OpenCL C
    .language_version:
      - 2
      - 0
    .max_flat_workgroup_size: 90
    .name:           fft_rtc_fwd_len2700_factors_3_10_10_3_3_wgs_90_tpt_90_halfLds_sp_ip_CI_unitstride_sbrr_C2R_dirReg
    .private_segment_fixed_size: 0
    .sgpr_count:     28
    .sgpr_spill_count: 0
    .symbol:         fft_rtc_fwd_len2700_factors_3_10_10_3_3_wgs_90_tpt_90_halfLds_sp_ip_CI_unitstride_sbrr_C2R_dirReg.kd
    .uniform_work_group_size: 1
    .uses_dynamic_stack: false
    .vgpr_count:     154
    .vgpr_spill_count: 0
    .wavefront_size: 64
amdhsa.target:   amdgcn-amd-amdhsa--gfx950
amdhsa.version:
  - 1
  - 2
...

	.end_amdgpu_metadata
